;; amdgpu-corpus repo=vllm-project/vllm kind=compiled arch=gfx942 opt=O3
	.text
	.amdgcn_target "amdgcn-amd-amdhsa--gfx942"
	.amdhsa_code_object_version 6
	.section	.text._ZN4vllm21deepseek_v4_fused_ops47fusedDeepseekV4QNormRopeKVRopeQuantInsertKernelIN3c104HalfELi8EEEvPKT_PS4_S6_PhPKlSA_PKffiiiii,"axG",@progbits,_ZN4vllm21deepseek_v4_fused_ops47fusedDeepseekV4QNormRopeKVRopeQuantInsertKernelIN3c104HalfELi8EEEvPKT_PS4_S6_PhPKlSA_PKffiiiii,comdat
	.protected	_ZN4vllm21deepseek_v4_fused_ops47fusedDeepseekV4QNormRopeKVRopeQuantInsertKernelIN3c104HalfELi8EEEvPKT_PS4_S6_PhPKlSA_PKffiiiii ; -- Begin function _ZN4vllm21deepseek_v4_fused_ops47fusedDeepseekV4QNormRopeKVRopeQuantInsertKernelIN3c104HalfELi8EEEvPKT_PS4_S6_PhPKlSA_PKffiiiii
	.globl	_ZN4vllm21deepseek_v4_fused_ops47fusedDeepseekV4QNormRopeKVRopeQuantInsertKernelIN3c104HalfELi8EEEvPKT_PS4_S6_PhPKlSA_PKffiiiii
	.p2align	8
	.type	_ZN4vllm21deepseek_v4_fused_ops47fusedDeepseekV4QNormRopeKVRopeQuantInsertKernelIN3c104HalfELi8EEEvPKT_PS4_S6_PhPKlSA_PKffiiiii,@function
_ZN4vllm21deepseek_v4_fused_ops47fusedDeepseekV4QNormRopeKVRopeQuantInsertKernelIN3c104HalfELi8EEEvPKT_PS4_S6_PhPKlSA_PKffiiiii: ; @_ZN4vllm21deepseek_v4_fused_ops47fusedDeepseekV4QNormRopeKVRopeQuantInsertKernelIN3c104HalfELi8EEEvPKT_PS4_S6_PhPKlSA_PKffiiiii
; %bb.0:
	s_load_dword s3, s[0:1], 0x5c
	s_load_dwordx4 s[12:15], s[0:1], 0x38
	v_lshrrev_b32_e32 v1, 5, v0
	s_waitcnt lgkmcnt(0)
	s_bfe_u32 s3, s3, 0xb0005
	s_mul_i32 s2, s2, s3
	v_add_u32_e32 v1, s2, v1
	s_mov_b32 s2, 0x38e38e39
	v_mul_hi_i32 v2, v1, s2
	v_lshrrev_b32_e32 v3, 31, v2
	v_ashrrev_i32_e32 v2, 1, v2
	v_add_u32_e32 v32, v2, v3
	v_cmp_gt_i32_e32 vcc, s13, v32
	s_and_saveexec_b64 s[2:3], vcc
	s_cbranch_execz .LBB0_18
; %bb.1:
	s_load_dwordx2 s[16:17], s[0:1], 0x48
	v_lshl_add_u32 v2, v32, 3, v32
	v_sub_u32_e32 v34, v1, v2
	v_cmp_ne_u32_e64 s[2:3], 8, v34
	v_cmp_gt_i32_e64 s[4:5], s14, v32
	v_cmp_eq_u32_e32 vcc, 8, v34
	s_or_b64 s[4:5], s[2:3], s[4:5]
	s_and_b64 exec, exec, s[4:5]
	s_cbranch_execz .LBB0_18
; %bb.2:
	s_load_dwordx4 s[8:11], s[0:1], 0x18
	s_load_dwordx2 s[18:19], s[0:1], 0x28
	v_cmp_gt_i32_e64 s[4:5], s15, v34
	s_xor_b64 s[6:7], s[2:3], -1
	v_lshlrev_b32_e32 v0, 4, v0
	s_or_b64 s[6:7], s[6:7], s[4:5]
	v_and_b32_e32 v36, 0x1f0, v0
	v_ashrrev_i32_e32 v33, 31, v32
                                        ; implicit-def: $vgpr9
                                        ; implicit-def: $vgpr17
	s_and_saveexec_b64 s[4:5], s[6:7]
	s_cbranch_execz .LBB0_8
; %bb.3:
                                        ; implicit-def: $vgpr0_vgpr1
	s_and_saveexec_b64 s[20:21], vcc
	s_xor_b64 s[20:21], exec, s[20:21]
	s_cbranch_execz .LBB0_5
; %bb.4:
	s_load_dwordx2 s[22:23], s[0:1], 0x10
	v_lshlrev_b64 v[0:1], 10, v[32:33]
	v_lshlrev_b32_e32 v2, 1, v36
	v_mov_b32_e32 v3, 0
	s_waitcnt lgkmcnt(0)
	v_lshl_add_u64 v[0:1], s[22:23], 0, v[0:1]
	v_lshl_add_u64 v[0:1], v[0:1], 0, v[2:3]
.LBB0_5:
	s_andn2_saveexec_b64 s[20:21], s[20:21]
	s_cbranch_execz .LBB0_7
; %bb.6:
	s_load_dwordx2 s[22:23], s[0:1], 0x0
	v_ashrrev_i32_e32 v35, 31, v34
	v_mad_i64_i32 v[0:1], s[14:15], v32, s15, v[34:35]
	v_lshlrev_b64 v[0:1], 10, v[0:1]
	v_lshl_or_b32 v0, v36, 1, v0
	s_waitcnt lgkmcnt(0)
	v_lshl_add_u64 v[0:1], s[22:23], 0, v[0:1]
.LBB0_7:
	s_or_b64 exec, exec, s[20:21]
	global_load_dwordx4 v[14:17], v[0:1], off offset:16
	global_load_dwordx4 v[6:9], v[0:1], off
.LBB0_8:
	s_or_b64 exec, exec, s[4:5]
	s_load_dwordx2 s[4:5], s[0:1], 0x8
	s_load_dwordx2 s[14:15], s[0:1], 0x30
	s_and_saveexec_b64 s[0:1], s[6:7]
	s_xor_b64 s[6:7], exec, s[0:1]
	s_cbranch_execz .LBB0_16
; %bb.9:
	s_waitcnt vmcnt(0)
	v_cvt_f32_f16_sdwa v1, v6 dst_sel:DWORD dst_unused:UNUSED_PAD src0_sel:WORD_1
	v_cvt_f32_f16_e32 v0, v6
	v_cvt_f32_f16_sdwa v3, v7 dst_sel:DWORD dst_unused:UNUSED_PAD src0_sel:WORD_1
	v_cvt_f32_f16_e32 v2, v7
	;; [unrolled: 2-line block ×8, first 2 shown]
	s_and_saveexec_b64 s[20:21], s[2:3]
	s_cbranch_execz .LBB0_11
; %bb.10:
	v_pk_mul_f32 v[16:17], v[0:1], v[0:1]
	v_pk_mul_f32 v[18:19], v[2:3], v[2:3]
	v_add_f32_e32 v16, v16, v17
	v_add_f32_e32 v16, v18, v16
	v_pk_mul_f32 v[20:21], v[4:5], v[4:5]
	v_add_f32_e32 v16, v19, v16
	v_add_f32_e32 v16, v20, v16
	;; [unrolled: 3-line block ×4, first 2 shown]
	v_pk_mul_f32 v[26:27], v[10:11], v[10:11]
	v_add_f32_e32 v16, v25, v16
	v_mbcnt_lo_u32_b32 v17, -1, 0
	v_add_f32_e32 v16, v26, v16
	v_mbcnt_hi_u32_b32 v17, -1, v17
	v_pk_mul_f32 v[28:29], v[12:13], v[12:13]
	v_add_f32_e32 v16, v27, v16
	v_and_b32_e32 v18, 0x60, v17
	v_add_f32_e32 v16, v28, v16
	v_add_u32_e32 v18, 32, v18
	v_xor_b32_e32 v19, 16, v17
	v_pk_mul_f32 v[30:31], v[14:15], v[14:15]
	v_add_f32_e32 v16, v29, v16
	v_cmp_lt_i32_e64 s[0:1], v19, v18
	v_add_f32_e32 v16, v30, v16
	v_add_f32_e32 v16, v31, v16
	v_cndmask_b32_e64 v19, v17, v19, s[0:1]
	v_lshlrev_b32_e32 v19, 2, v19
	ds_bpermute_b32 v19, v19, v16
	s_waitcnt lgkmcnt(0)
	v_add_f32_e32 v16, v16, v19
	v_xor_b32_e32 v19, 8, v17
	v_cmp_lt_i32_e64 s[0:1], v19, v18
	s_nop 1
	v_cndmask_b32_e64 v19, v17, v19, s[0:1]
	v_lshlrev_b32_e32 v19, 2, v19
	ds_bpermute_b32 v19, v19, v16
	s_waitcnt lgkmcnt(0)
	v_add_f32_e32 v16, v16, v19
	v_xor_b32_e32 v19, 4, v17
	v_cmp_lt_i32_e64 s[0:1], v19, v18
	s_nop 1
	;; [unrolled: 8-line block ×4, first 2 shown]
	v_cndmask_b32_e64 v17, v17, v19, s[0:1]
	v_lshlrev_b32_e32 v17, 2, v17
	ds_bpermute_b32 v17, v17, v16
	s_mov_b32 s0, 0x800000
	s_waitcnt lgkmcnt(0)
	v_add_f32_e32 v16, v16, v17
	v_mov_b32_e32 v17, s12
	v_fmamk_f32 v16, v16, 0x3b000000, v17
	v_mul_f32_e32 v17, 0x4b800000, v16
	v_cmp_gt_f32_e64 s[0:1], s0, v16
	s_nop 1
	v_cndmask_b32_e64 v16, v16, v17, s[0:1]
	v_rsq_f32_e32 v16, v16
	s_nop 0
	v_mul_f32_e32 v17, 0x45800000, v16
	v_cndmask_b32_e64 v16, v16, v17, s[0:1]
	v_pk_mul_f32 v[14:15], v[16:17], v[14:15] op_sel_hi:[0,1]
	v_pk_mul_f32 v[12:13], v[16:17], v[12:13] op_sel_hi:[0,1]
	;; [unrolled: 1-line block ×8, first 2 shown]
.LBB0_11:
	s_or_b64 exec, exec, s[20:21]
	s_movk_i32 s0, 0x1c0
	s_movk_i32 s2, 0x1bf
	v_cmp_gt_u32_e64 s[0:1], s0, v36
	v_cmp_lt_u32_e64 s[2:3], s2, v36
	s_and_saveexec_b64 s[12:13], s[2:3]
	s_cbranch_execnz .LBB0_19
; %bb.12:
	s_or_b64 exec, exec, s[12:13]
	s_and_saveexec_b64 s[2:3], vcc
	s_xor_b64 s[2:3], exec, s[2:3]
	s_cbranch_execnz .LBB0_20
.LBB0_13:
	s_andn2_saveexec_b64 s[0:1], s[2:3]
	s_cbranch_execz .LBB0_15
.LBB0_14:
	v_cvt_f16_f32_e32 v16, v0
	v_cvt_f16_f32_e32 v17, v1
	;; [unrolled: 1-line block ×16, first 2 shown]
	v_ashrrev_i32_e32 v35, 31, v34
	v_lshlrev_b64 v[0:1], 13, v[32:33]
	s_waitcnt lgkmcnt(0)
	v_lshl_add_u64 v[0:1], s[4:5], 0, v[0:1]
	v_lshlrev_b64 v[2:3], 10, v[34:35]
	v_lshl_add_u64 v[0:1], v[0:1], 0, v[2:3]
	v_lshlrev_b32_e32 v2, 1, v36
	v_mov_b32_e32 v3, 0
	v_lshl_add_u64 v[4:5], v[0:1], 0, v[2:3]
	v_pack_b32_f16 v3, v6, v7
	v_pack_b32_f16 v2, v20, v21
	;; [unrolled: 1-line block ×4, first 2 shown]
	global_store_dwordx4 v[4:5], v[0:3], off
	s_nop 1
	v_pack_b32_f16 v3, v14, v15
	v_pack_b32_f16 v2, v12, v13
	;; [unrolled: 1-line block ×4, first 2 shown]
	global_store_dwordx4 v[4:5], v[0:3], off offset:16
.LBB0_15:
	s_or_b64 exec, exec, s[0:1]
                                        ; implicit-def: $vgpr32
                                        ; implicit-def: $vgpr34
                                        ; implicit-def: $vgpr36
.LBB0_16:
	s_andn2_saveexec_b64 s[0:1], s[6:7]
	s_cbranch_execz .LBB0_18
; %bb.17:
	v_ashrrev_i32_e32 v35, 31, v34
	v_lshlrev_b64 v[0:1], 13, v[32:33]
	s_waitcnt lgkmcnt(0)
	v_lshl_add_u64 v[0:1], s[4:5], 0, v[0:1]
	v_lshlrev_b64 v[2:3], 10, v[34:35]
	s_mov_b32 s0, 0
	v_lshl_add_u64 v[0:1], v[0:1], 0, v[2:3]
	v_lshlrev_b32_e32 v2, 1, v36
	v_mov_b32_e32 v3, 0
	s_mov_b32 s1, s0
	v_lshl_add_u64 v[4:5], v[0:1], 0, v[2:3]
	s_mov_b32 s2, s0
	s_mov_b32 s3, s0
	v_mov_b64_e32 v[0:1], s[0:1]
	v_mov_b64_e32 v[2:3], s[2:3]
	global_store_dwordx4 v[4:5], v[0:3], off
	global_store_dwordx4 v[4:5], v[0:3], off offset:16
.LBB0_18:
	s_endpgm
.LBB0_19:
	s_waitcnt lgkmcnt(0)
	v_lshl_add_u64 v[16:17], v[32:33], 3, s[18:19]
	global_load_dwordx2 v[16:17], v[16:17], off
	v_add_u32_e32 v18, 0xfffffe40, v36
	v_mov_b32_e32 v19, 0
	v_lshrrev_b32_e32 v18, 1, v18
	s_waitcnt vmcnt(0)
	v_lshlrev_b64 v[16:17], 8, v[16:17]
	v_lshl_add_u64 v[16:17], s[14:15], 0, v[16:17]
	v_lshl_add_u64 v[16:17], v[18:19], 2, v[16:17]
	global_load_dwordx4 v[20:23], v[16:17], off offset:128
	global_load_dwordx4 v[28:31], v[16:17], off offset:144
	global_load_dwordx4 v[38:41], v[16:17], off
	global_load_dwordx4 v[42:45], v[16:17], off offset:16
	s_waitcnt vmcnt(3)
	v_mul_f32_e32 v16, v1, v20
	v_mul_f32_e32 v17, v0, v20
	;; [unrolled: 1-line block ×8, first 2 shown]
	s_waitcnt vmcnt(2)
	v_mul_f32_e32 v24, v9, v28
	v_mul_f32_e32 v25, v8, v28
	;; [unrolled: 1-line block ×8, first 2 shown]
	s_waitcnt vmcnt(1)
	v_fma_f32 v16, v0, v38, -v16
	v_fmac_f32_e32 v17, v1, v38
	v_fma_f32 v18, v2, v39, -v18
	v_fmac_f32_e32 v19, v3, v39
	;; [unrolled: 2-line block ×4, first 2 shown]
	s_waitcnt vmcnt(0)
	v_fma_f32 v24, v8, v42, -v24
	v_fmac_f32_e32 v25, v9, v42
	v_fma_f32 v26, v10, v43, -v26
	v_fmac_f32_e32 v27, v11, v43
	;; [unrolled: 2-line block ×4, first 2 shown]
	v_mov_b64_e32 v[0:1], v[16:17]
	v_mov_b64_e32 v[2:3], v[18:19]
	;; [unrolled: 1-line block ×8, first 2 shown]
	s_or_b64 exec, exec, s[12:13]
	s_and_saveexec_b64 s[2:3], vcc
	s_xor_b64 s[2:3], exec, s[2:3]
	s_cbranch_execz .LBB0_13
.LBB0_20:
	s_waitcnt lgkmcnt(0)
	v_lshl_add_u64 v[16:17], v[32:33], 3, s[10:11]
	global_load_dwordx2 v[16:17], v[16:17], off
	s_waitcnt vmcnt(0)
	v_cmp_lt_i64_e32 vcc, -1, v[16:17]
	s_and_saveexec_b64 s[10:11], vcc
	s_cbranch_execz .LBB0_28
; %bb.21:
	s_and_saveexec_b64 s[12:13], s[0:1]
	s_xor_b64 s[0:1], exec, s[12:13]
	s_cbranch_execnz .LBB0_29
; %bb.22:
	s_andn2_saveexec_b64 s[0:1], s[0:1]
	s_cbranch_execz .LBB0_28
.LBB0_23:
	s_ashr_i32 s20, s16, 31
	v_or_b32_e32 v19, s20, v17
	v_mov_b32_e32 v18, 0
	v_cmp_ne_u64_e32 vcc, 0, v[18:19]
                                        ; implicit-def: $vgpr20_vgpr21
	s_and_saveexec_b64 s[0:1], vcc
	s_xor_b64 s[12:13], exec, s[0:1]
	s_cbranch_execz .LBB0_25
; %bb.24:
	s_add_u32 s0, s16, s20
	s_mov_b32 s14, s20
	s_mov_b32 s15, s20
	s_addc_u32 s1, s20, s20
	s_xor_b64 s[18:19], s[0:1], s[14:15]
	v_cvt_f32_u32_e32 v19, s18
	v_cvt_f32_u32_e32 v20, s19
	s_sub_u32 s0, 0, s18
	s_subb_u32 s1, 0, s19
	v_mov_b32_e32 v23, v18
	v_fmamk_f32 v19, v20, 0x4f800000, v19
	v_rcp_f32_e32 v19, v19
	s_nop 0
	v_mul_f32_e32 v19, 0x5f7ffffc, v19
	v_mul_f32_e32 v20, 0x2f800000, v19
	v_trunc_f32_e32 v20, v20
	v_fmamk_f32 v19, v20, 0xcf800000, v19
	v_cvt_u32_f32_e32 v24, v20
	v_cvt_u32_f32_e32 v19, v19
	v_mul_lo_u32 v20, s0, v24
	v_mul_hi_u32 v22, s0, v19
	v_mul_lo_u32 v21, s1, v19
	v_add_u32_e32 v20, v22, v20
	v_mul_lo_u32 v25, s0, v19
	v_add_u32_e32 v26, v20, v21
	v_mul_hi_u32 v21, v19, v26
	v_mul_lo_u32 v20, v19, v26
	v_mul_hi_u32 v22, v19, v25
	v_lshl_add_u64 v[20:21], v[22:23], 0, v[20:21]
	v_mul_hi_u32 v23, v24, v25
	v_mul_lo_u32 v25, v24, v25
	v_add_co_u32_e32 v20, vcc, v20, v25
	v_mul_hi_u32 v22, v24, v26
	s_nop 0
	v_addc_co_u32_e32 v20, vcc, v21, v23, vcc
	v_mov_b32_e32 v21, v18
	s_nop 0
	v_addc_co_u32_e32 v23, vcc, 0, v22, vcc
	v_mul_lo_u32 v22, v24, v26
	v_lshl_add_u64 v[20:21], v[20:21], 0, v[22:23]
	v_add_co_u32_e32 v19, vcc, v19, v20
	v_mul_lo_u32 v22, s0, v19
	s_nop 0
	v_addc_co_u32_e32 v24, vcc, v24, v21, vcc
	v_mul_lo_u32 v20, s0, v24
	v_mul_hi_u32 v21, s0, v19
	v_add_u32_e32 v20, v21, v20
	v_mul_lo_u32 v21, s1, v19
	v_add_u32_e32 v25, v20, v21
	v_mul_hi_u32 v27, v24, v22
	v_mul_lo_u32 v28, v24, v22
	v_mul_hi_u32 v21, v19, v25
	v_mul_lo_u32 v20, v19, v25
	v_mul_hi_u32 v22, v19, v22
	v_mov_b32_e32 v23, v18
	v_lshl_add_u64 v[20:21], v[22:23], 0, v[20:21]
	v_add_co_u32_e32 v20, vcc, v20, v28
	v_mul_hi_u32 v26, v24, v25
	s_nop 0
	v_addc_co_u32_e32 v20, vcc, v21, v27, vcc
	v_mul_lo_u32 v22, v24, v25
	s_nop 0
	v_addc_co_u32_e32 v23, vcc, 0, v26, vcc
	v_mov_b32_e32 v21, v18
	v_lshl_add_u64 v[20:21], v[20:21], 0, v[22:23]
	v_add_co_u32_e32 v19, vcc, v19, v20
	v_ashrrev_i32_e32 v20, 31, v17
	s_nop 0
	v_addc_co_u32_e32 v26, vcc, v24, v21, vcc
	v_mov_b32_e32 v21, v20
	v_lshl_add_u64 v[22:23], v[16:17], 0, v[20:21]
	v_xor_b32_e32 v28, v22, v20
	v_xor_b32_e32 v21, v23, v20
	v_mad_u64_u32 v[22:23], s[0:1], v28, v26, 0
	v_mul_hi_u32 v24, v28, v19
	v_mov_b32_e32 v25, v18
	v_lshl_add_u64 v[22:23], v[24:25], 0, v[22:23]
	v_mad_u64_u32 v[24:25], s[0:1], v21, v26, 0
	v_mad_u64_u32 v[26:27], s[0:1], v21, v19, 0
	v_add_co_u32_e32 v19, vcc, v22, v26
	s_nop 1
	v_addc_co_u32_e32 v22, vcc, v23, v27, vcc
	v_mov_b32_e32 v23, v18
	s_nop 0
	v_addc_co_u32_e32 v25, vcc, 0, v25, vcc
	v_lshl_add_u64 v[18:19], v[22:23], 0, v[24:25]
	v_mul_lo_u32 v24, s19, v18
	v_mul_lo_u32 v25, s18, v19
	v_mad_u64_u32 v[22:23], s[0:1], s18, v18, 0
	v_add3_u32 v26, v23, v25, v24
	v_sub_u32_e32 v23, v21, v26
	v_mov_b32_e32 v24, s19
	v_sub_co_u32_e32 v27, vcc, v28, v22
	s_nop 1
	v_subb_co_u32_e64 v22, s[0:1], v23, v24, vcc
	v_subrev_co_u32_e64 v23, s[0:1], s18, v27
	v_subb_co_u32_e32 v21, vcc, v21, v26, vcc
	s_nop 0
	v_subbrev_co_u32_e64 v22, s[0:1], 0, v22, s[0:1]
	v_cmp_le_u32_e64 s[0:1], s19, v22
	v_cmp_le_u32_e32 vcc, s19, v21
	s_nop 0
	v_cndmask_b32_e64 v24, 0, -1, s[0:1]
	v_cmp_le_u32_e64 s[0:1], s18, v23
	s_nop 1
	v_cndmask_b32_e64 v23, 0, -1, s[0:1]
	v_cmp_eq_u32_e64 s[0:1], s19, v22
	s_nop 1
	v_cndmask_b32_e64 v28, v24, v23, s[0:1]
	v_lshl_add_u64 v[22:23], v[18:19], 0, 2
	v_lshl_add_u64 v[24:25], v[18:19], 0, 1
	v_cmp_ne_u32_e64 s[0:1], 0, v28
	s_nop 1
	v_cndmask_b32_e64 v23, v25, v23, s[0:1]
	v_cndmask_b32_e64 v25, 0, -1, vcc
	v_cmp_le_u32_e32 vcc, s18, v27
	s_nop 1
	v_cndmask_b32_e64 v26, 0, -1, vcc
	v_cmp_eq_u32_e32 vcc, s19, v21
	s_nop 1
	v_cndmask_b32_e32 v21, v25, v26, vcc
	v_cmp_ne_u32_e32 vcc, 0, v21
	v_cndmask_b32_e64 v21, v24, v22, s[0:1]
	s_nop 0
	v_cndmask_b32_e32 v18, v18, v21, vcc
	v_xor_b32_e32 v21, s15, v20
	v_xor_b32_e32 v20, s14, v20
	v_cndmask_b32_e32 v19, v19, v23, vcc
	v_xor_b32_e32 v18, v18, v20
	v_xor_b32_e32 v19, v19, v21
	v_sub_co_u32_e32 v20, vcc, v18, v20
	s_nop 1
	v_subb_co_u32_e32 v21, vcc, v19, v21, vcc
.LBB0_25:
	s_andn2_saveexec_b64 s[0:1], s[12:13]
	s_cbranch_execz .LBB0_27
; %bb.26:
	v_cvt_f32_u32_e32 v18, s16
	s_sub_i32 s12, 0, s16
	v_rcp_iflag_f32_e32 v18, v18
	s_nop 0
	v_mul_f32_e32 v18, 0x4f7ffffe, v18
	v_cvt_u32_f32_e32 v18, v18
	v_mul_lo_u32 v19, s12, v18
	v_mul_hi_u32 v19, v18, v19
	v_add_u32_e32 v18, v18, v19
	v_mul_hi_u32 v18, v16, v18
	v_mul_lo_u32 v19, v18, s16
	v_sub_u32_e32 v19, v16, v19
	v_add_u32_e32 v20, 1, v18
	v_subrev_u32_e32 v21, s16, v19
	v_cmp_le_u32_e32 vcc, s16, v19
	s_nop 1
	v_cndmask_b32_e32 v19, v19, v21, vcc
	v_cndmask_b32_e32 v18, v18, v20, vcc
	v_add_u32_e32 v20, 1, v18
	v_cmp_le_u32_e32 vcc, s16, v19
	v_mov_b32_e32 v21, 0
	s_nop 0
	v_cndmask_b32_e32 v20, v18, v20, vcc
.LBB0_27:
	s_or_b64 exec, exec, s[0:1]
	s_ashr_i32 s12, s17, 31
	v_mov_b64_e32 v[18:19], s[8:9]
	v_mad_u64_u32 v[18:19], s[0:1], v20, s17, v[18:19]
	v_mul_lo_u32 v22, v21, s17
	v_mul_lo_u32 v23, v20, s12
	v_add3_u32 v19, v22, v19, v23
	v_mul_lo_u32 v22, v21, s16
	v_mul_lo_u32 v23, v20, s20
	v_mad_u64_u32 v[20:21], s[0:1], v20, s16, 0
	v_add3_u32 v21, v21, v23, v22
	v_sub_co_u32_e32 v16, vcc, v16, v20
	s_movk_i32 s8, 0x240
	s_nop 0
	v_subb_co_u32_e32 v20, vcc, v17, v21, vcc
	v_mad_u64_u32 v[16:17], s[0:1], v16, s8, v[18:19]
	v_mov_b32_e32 v18, v17
	v_mad_u64_u32 v[18:19], s[0:1], v20, s8, v[18:19]
	v_mov_b32_e32 v17, v18
	v_cvt_f16_f32_e32 v18, v0
	v_cvt_f16_f32_e32 v19, v1
	;; [unrolled: 1-line block ×16, first 2 shown]
	v_lshlrev_b32_e32 v0, 1, v36
	v_mov_b32_e32 v1, 0
	v_lshl_add_u64 v[4:5], v[16:17], 0, v[0:1]
	v_pack_b32_f16 v3, v3, v6
	v_pack_b32_f16 v2, v2, v22
	;; [unrolled: 1-line block ×4, first 2 shown]
	global_store_dwordx4 v[4:5], v[0:3], off offset:-448
	s_nop 1
	v_pack_b32_f16 v3, v13, v15
	v_pack_b32_f16 v2, v11, v12
	;; [unrolled: 1-line block ×4, first 2 shown]
	global_store_dwordx4 v[4:5], v[0:3], off offset:-432
.LBB0_28:
	s_or_b64 exec, exec, s[10:11]
                                        ; implicit-def: $vgpr0_vgpr1_vgpr2_vgpr3_vgpr4_vgpr5_vgpr6_vgpr7_vgpr8_vgpr9_vgpr10_vgpr11_vgpr12_vgpr13_vgpr14_vgpr15
                                        ; implicit-def: $vgpr32
                                        ; implicit-def: $vgpr34
                                        ; implicit-def: $vgpr36
	s_andn2_saveexec_b64 s[0:1], s[2:3]
	s_cbranch_execnz .LBB0_14
	s_branch .LBB0_15
.LBB0_29:
	s_trap 2
	; divergent unreachable
                                        ; implicit-def: $vgpr16_vgpr17
                                        ; implicit-def: $vgpr0_vgpr1_vgpr2_vgpr3_vgpr4_vgpr5_vgpr6_vgpr7_vgpr8_vgpr9_vgpr10_vgpr11_vgpr12_vgpr13_vgpr14_vgpr15
                                        ; implicit-def: $vgpr36
	s_andn2_saveexec_b64 s[0:1], s[0:1]
	s_cbranch_execnz .LBB0_23
	s_branch .LBB0_28
	.section	.rodata,"a",@progbits
	.p2align	6, 0x0
	.amdhsa_kernel _ZN4vllm21deepseek_v4_fused_ops47fusedDeepseekV4QNormRopeKVRopeQuantInsertKernelIN3c104HalfELi8EEEvPKT_PS4_S6_PhPKlSA_PKffiiiii
		.amdhsa_group_segment_fixed_size 0
		.amdhsa_private_segment_fixed_size 0
		.amdhsa_kernarg_size 336
		.amdhsa_user_sgpr_count 2
		.amdhsa_user_sgpr_dispatch_ptr 0
		.amdhsa_user_sgpr_queue_ptr 0
		.amdhsa_user_sgpr_kernarg_segment_ptr 1
		.amdhsa_user_sgpr_dispatch_id 0
		.amdhsa_user_sgpr_kernarg_preload_length 0
		.amdhsa_user_sgpr_kernarg_preload_offset 0
		.amdhsa_user_sgpr_private_segment_size 0
		.amdhsa_uses_dynamic_stack 0
		.amdhsa_enable_private_segment 0
		.amdhsa_system_sgpr_workgroup_id_x 1
		.amdhsa_system_sgpr_workgroup_id_y 0
		.amdhsa_system_sgpr_workgroup_id_z 0
		.amdhsa_system_sgpr_workgroup_info 0
		.amdhsa_system_vgpr_workitem_id 0
		.amdhsa_next_free_vgpr 46
		.amdhsa_next_free_sgpr 24
		.amdhsa_accum_offset 48
		.amdhsa_reserve_vcc 1
		.amdhsa_float_round_mode_32 0
		.amdhsa_float_round_mode_16_64 0
		.amdhsa_float_denorm_mode_32 3
		.amdhsa_float_denorm_mode_16_64 3
		.amdhsa_dx10_clamp 1
		.amdhsa_ieee_mode 1
		.amdhsa_fp16_overflow 0
		.amdhsa_tg_split 0
		.amdhsa_exception_fp_ieee_invalid_op 0
		.amdhsa_exception_fp_denorm_src 0
		.amdhsa_exception_fp_ieee_div_zero 0
		.amdhsa_exception_fp_ieee_overflow 0
		.amdhsa_exception_fp_ieee_underflow 0
		.amdhsa_exception_fp_ieee_inexact 0
		.amdhsa_exception_int_div_zero 0
	.end_amdhsa_kernel
	.section	.text._ZN4vllm21deepseek_v4_fused_ops47fusedDeepseekV4QNormRopeKVRopeQuantInsertKernelIN3c104HalfELi8EEEvPKT_PS4_S6_PhPKlSA_PKffiiiii,"axG",@progbits,_ZN4vllm21deepseek_v4_fused_ops47fusedDeepseekV4QNormRopeKVRopeQuantInsertKernelIN3c104HalfELi8EEEvPKT_PS4_S6_PhPKlSA_PKffiiiii,comdat
.Lfunc_end0:
	.size	_ZN4vllm21deepseek_v4_fused_ops47fusedDeepseekV4QNormRopeKVRopeQuantInsertKernelIN3c104HalfELi8EEEvPKT_PS4_S6_PhPKlSA_PKffiiiii, .Lfunc_end0-_ZN4vllm21deepseek_v4_fused_ops47fusedDeepseekV4QNormRopeKVRopeQuantInsertKernelIN3c104HalfELi8EEEvPKT_PS4_S6_PhPKlSA_PKffiiiii
                                        ; -- End function
	.section	.AMDGPU.csdata,"",@progbits
; Kernel info:
; codeLenInByte = 2936
; NumSgprs: 30
; NumVgprs: 46
; NumAgprs: 0
; TotalNumVgprs: 46
; ScratchSize: 0
; MemoryBound: 1
; FloatMode: 240
; IeeeMode: 1
; LDSByteSize: 0 bytes/workgroup (compile time only)
; SGPRBlocks: 3
; VGPRBlocks: 5
; NumSGPRsForWavesPerEU: 30
; NumVGPRsForWavesPerEU: 46
; AccumOffset: 48
; Occupancy: 8
; WaveLimiterHint : 1
; COMPUTE_PGM_RSRC2:SCRATCH_EN: 0
; COMPUTE_PGM_RSRC2:USER_SGPR: 2
; COMPUTE_PGM_RSRC2:TRAP_HANDLER: 0
; COMPUTE_PGM_RSRC2:TGID_X_EN: 1
; COMPUTE_PGM_RSRC2:TGID_Y_EN: 0
; COMPUTE_PGM_RSRC2:TGID_Z_EN: 0
; COMPUTE_PGM_RSRC2:TIDIG_COMP_CNT: 0
; COMPUTE_PGM_RSRC3_GFX90A:ACCUM_OFFSET: 11
; COMPUTE_PGM_RSRC3_GFX90A:TG_SPLIT: 0
	.section	.text._ZN4vllm21deepseek_v4_fused_ops47fusedDeepseekV4QNormRopeKVRopeQuantInsertKernelIN3c104HalfELi16EEEvPKT_PS4_S6_PhPKlSA_PKffiiiii,"axG",@progbits,_ZN4vllm21deepseek_v4_fused_ops47fusedDeepseekV4QNormRopeKVRopeQuantInsertKernelIN3c104HalfELi16EEEvPKT_PS4_S6_PhPKlSA_PKffiiiii,comdat
	.protected	_ZN4vllm21deepseek_v4_fused_ops47fusedDeepseekV4QNormRopeKVRopeQuantInsertKernelIN3c104HalfELi16EEEvPKT_PS4_S6_PhPKlSA_PKffiiiii ; -- Begin function _ZN4vllm21deepseek_v4_fused_ops47fusedDeepseekV4QNormRopeKVRopeQuantInsertKernelIN3c104HalfELi16EEEvPKT_PS4_S6_PhPKlSA_PKffiiiii
	.globl	_ZN4vllm21deepseek_v4_fused_ops47fusedDeepseekV4QNormRopeKVRopeQuantInsertKernelIN3c104HalfELi16EEEvPKT_PS4_S6_PhPKlSA_PKffiiiii
	.p2align	8
	.type	_ZN4vllm21deepseek_v4_fused_ops47fusedDeepseekV4QNormRopeKVRopeQuantInsertKernelIN3c104HalfELi16EEEvPKT_PS4_S6_PhPKlSA_PKffiiiii,@function
_ZN4vllm21deepseek_v4_fused_ops47fusedDeepseekV4QNormRopeKVRopeQuantInsertKernelIN3c104HalfELi16EEEvPKT_PS4_S6_PhPKlSA_PKffiiiii: ; @_ZN4vllm21deepseek_v4_fused_ops47fusedDeepseekV4QNormRopeKVRopeQuantInsertKernelIN3c104HalfELi16EEEvPKT_PS4_S6_PhPKlSA_PKffiiiii
; %bb.0:
	s_load_dword s3, s[0:1], 0x5c
	s_load_dwordx4 s[12:15], s[0:1], 0x38
	v_lshrrev_b32_e32 v1, 5, v0
	s_waitcnt lgkmcnt(0)
	s_bfe_u32 s3, s3, 0xb0005
	s_mul_i32 s2, s2, s3
	v_add_u32_e32 v1, s2, v1
	s_mov_b32 s2, 0x78787879
	v_mul_hi_i32 v2, v1, s2
	v_lshrrev_b32_e32 v3, 31, v2
	v_ashrrev_i32_e32 v2, 3, v2
	v_add_u32_e32 v32, v2, v3
	v_cmp_gt_i32_e32 vcc, s13, v32
	s_and_saveexec_b64 s[2:3], vcc
	s_cbranch_execz .LBB1_18
; %bb.1:
	s_load_dwordx2 s[16:17], s[0:1], 0x48
	v_lshl_add_u32 v2, v32, 4, v32
	v_sub_u32_e32 v34, v1, v2
	v_cmp_ne_u32_e64 s[2:3], 16, v34
	v_cmp_gt_i32_e64 s[4:5], s14, v32
	v_cmp_eq_u32_e32 vcc, 16, v34
	s_or_b64 s[4:5], s[2:3], s[4:5]
	s_and_b64 exec, exec, s[4:5]
	s_cbranch_execz .LBB1_18
; %bb.2:
	s_load_dwordx4 s[8:11], s[0:1], 0x18
	s_load_dwordx2 s[18:19], s[0:1], 0x28
	v_cmp_gt_i32_e64 s[4:5], s15, v34
	s_xor_b64 s[6:7], s[2:3], -1
	v_lshlrev_b32_e32 v0, 4, v0
	s_or_b64 s[6:7], s[6:7], s[4:5]
	v_and_b32_e32 v36, 0x1f0, v0
	v_ashrrev_i32_e32 v33, 31, v32
                                        ; implicit-def: $vgpr9
                                        ; implicit-def: $vgpr17
	s_and_saveexec_b64 s[4:5], s[6:7]
	s_cbranch_execz .LBB1_8
; %bb.3:
                                        ; implicit-def: $vgpr0_vgpr1
	s_and_saveexec_b64 s[20:21], vcc
	s_xor_b64 s[20:21], exec, s[20:21]
	s_cbranch_execz .LBB1_5
; %bb.4:
	s_load_dwordx2 s[22:23], s[0:1], 0x10
	v_lshlrev_b64 v[0:1], 10, v[32:33]
	v_lshlrev_b32_e32 v2, 1, v36
	v_mov_b32_e32 v3, 0
	s_waitcnt lgkmcnt(0)
	v_lshl_add_u64 v[0:1], s[22:23], 0, v[0:1]
	v_lshl_add_u64 v[0:1], v[0:1], 0, v[2:3]
.LBB1_5:
	s_andn2_saveexec_b64 s[20:21], s[20:21]
	s_cbranch_execz .LBB1_7
; %bb.6:
	s_load_dwordx2 s[22:23], s[0:1], 0x0
	v_ashrrev_i32_e32 v35, 31, v34
	v_mad_i64_i32 v[0:1], s[14:15], v32, s15, v[34:35]
	v_lshlrev_b64 v[0:1], 10, v[0:1]
	v_lshl_or_b32 v0, v36, 1, v0
	s_waitcnt lgkmcnt(0)
	v_lshl_add_u64 v[0:1], s[22:23], 0, v[0:1]
.LBB1_7:
	s_or_b64 exec, exec, s[20:21]
	global_load_dwordx4 v[14:17], v[0:1], off offset:16
	global_load_dwordx4 v[6:9], v[0:1], off
.LBB1_8:
	s_or_b64 exec, exec, s[4:5]
	s_load_dwordx2 s[4:5], s[0:1], 0x8
	s_load_dwordx2 s[14:15], s[0:1], 0x30
	s_and_saveexec_b64 s[0:1], s[6:7]
	s_xor_b64 s[6:7], exec, s[0:1]
	s_cbranch_execz .LBB1_16
; %bb.9:
	s_waitcnt vmcnt(0)
	v_cvt_f32_f16_sdwa v1, v6 dst_sel:DWORD dst_unused:UNUSED_PAD src0_sel:WORD_1
	v_cvt_f32_f16_e32 v0, v6
	v_cvt_f32_f16_sdwa v3, v7 dst_sel:DWORD dst_unused:UNUSED_PAD src0_sel:WORD_1
	v_cvt_f32_f16_e32 v2, v7
	;; [unrolled: 2-line block ×8, first 2 shown]
	s_and_saveexec_b64 s[20:21], s[2:3]
	s_cbranch_execz .LBB1_11
; %bb.10:
	v_pk_mul_f32 v[16:17], v[0:1], v[0:1]
	v_pk_mul_f32 v[18:19], v[2:3], v[2:3]
	v_add_f32_e32 v16, v16, v17
	v_add_f32_e32 v16, v18, v16
	v_pk_mul_f32 v[20:21], v[4:5], v[4:5]
	v_add_f32_e32 v16, v19, v16
	v_add_f32_e32 v16, v20, v16
	;; [unrolled: 3-line block ×4, first 2 shown]
	v_pk_mul_f32 v[26:27], v[10:11], v[10:11]
	v_add_f32_e32 v16, v25, v16
	v_mbcnt_lo_u32_b32 v17, -1, 0
	v_add_f32_e32 v16, v26, v16
	v_mbcnt_hi_u32_b32 v17, -1, v17
	v_pk_mul_f32 v[28:29], v[12:13], v[12:13]
	v_add_f32_e32 v16, v27, v16
	v_and_b32_e32 v18, 0x60, v17
	v_add_f32_e32 v16, v28, v16
	v_add_u32_e32 v18, 32, v18
	v_xor_b32_e32 v19, 16, v17
	v_pk_mul_f32 v[30:31], v[14:15], v[14:15]
	v_add_f32_e32 v16, v29, v16
	v_cmp_lt_i32_e64 s[0:1], v19, v18
	v_add_f32_e32 v16, v30, v16
	v_add_f32_e32 v16, v31, v16
	v_cndmask_b32_e64 v19, v17, v19, s[0:1]
	v_lshlrev_b32_e32 v19, 2, v19
	ds_bpermute_b32 v19, v19, v16
	s_waitcnt lgkmcnt(0)
	v_add_f32_e32 v16, v16, v19
	v_xor_b32_e32 v19, 8, v17
	v_cmp_lt_i32_e64 s[0:1], v19, v18
	s_nop 1
	v_cndmask_b32_e64 v19, v17, v19, s[0:1]
	v_lshlrev_b32_e32 v19, 2, v19
	ds_bpermute_b32 v19, v19, v16
	s_waitcnt lgkmcnt(0)
	v_add_f32_e32 v16, v16, v19
	v_xor_b32_e32 v19, 4, v17
	v_cmp_lt_i32_e64 s[0:1], v19, v18
	s_nop 1
	;; [unrolled: 8-line block ×4, first 2 shown]
	v_cndmask_b32_e64 v17, v17, v19, s[0:1]
	v_lshlrev_b32_e32 v17, 2, v17
	ds_bpermute_b32 v17, v17, v16
	s_mov_b32 s0, 0x800000
	s_waitcnt lgkmcnt(0)
	v_add_f32_e32 v16, v16, v17
	v_mov_b32_e32 v17, s12
	v_fmamk_f32 v16, v16, 0x3b000000, v17
	v_mul_f32_e32 v17, 0x4b800000, v16
	v_cmp_gt_f32_e64 s[0:1], s0, v16
	s_nop 1
	v_cndmask_b32_e64 v16, v16, v17, s[0:1]
	v_rsq_f32_e32 v16, v16
	s_nop 0
	v_mul_f32_e32 v17, 0x45800000, v16
	v_cndmask_b32_e64 v16, v16, v17, s[0:1]
	v_pk_mul_f32 v[14:15], v[16:17], v[14:15] op_sel_hi:[0,1]
	v_pk_mul_f32 v[12:13], v[16:17], v[12:13] op_sel_hi:[0,1]
	;; [unrolled: 1-line block ×8, first 2 shown]
.LBB1_11:
	s_or_b64 exec, exec, s[20:21]
	s_movk_i32 s0, 0x1c0
	s_movk_i32 s2, 0x1bf
	v_cmp_gt_u32_e64 s[0:1], s0, v36
	v_cmp_lt_u32_e64 s[2:3], s2, v36
	s_and_saveexec_b64 s[12:13], s[2:3]
	s_cbranch_execnz .LBB1_19
; %bb.12:
	s_or_b64 exec, exec, s[12:13]
	s_and_saveexec_b64 s[2:3], vcc
	s_xor_b64 s[2:3], exec, s[2:3]
	s_cbranch_execnz .LBB1_20
.LBB1_13:
	s_andn2_saveexec_b64 s[0:1], s[2:3]
	s_cbranch_execz .LBB1_15
.LBB1_14:
	v_cvt_f16_f32_e32 v16, v0
	v_cvt_f16_f32_e32 v17, v1
	;; [unrolled: 1-line block ×16, first 2 shown]
	v_ashrrev_i32_e32 v35, 31, v34
	v_lshlrev_b64 v[0:1], 14, v[32:33]
	s_waitcnt lgkmcnt(0)
	v_lshl_add_u64 v[0:1], s[4:5], 0, v[0:1]
	v_lshlrev_b64 v[2:3], 10, v[34:35]
	v_lshl_add_u64 v[0:1], v[0:1], 0, v[2:3]
	v_lshlrev_b32_e32 v2, 1, v36
	v_mov_b32_e32 v3, 0
	v_lshl_add_u64 v[4:5], v[0:1], 0, v[2:3]
	v_pack_b32_f16 v3, v6, v7
	v_pack_b32_f16 v2, v20, v21
	;; [unrolled: 1-line block ×4, first 2 shown]
	global_store_dwordx4 v[4:5], v[0:3], off
	s_nop 1
	v_pack_b32_f16 v3, v14, v15
	v_pack_b32_f16 v2, v12, v13
	;; [unrolled: 1-line block ×4, first 2 shown]
	global_store_dwordx4 v[4:5], v[0:3], off offset:16
.LBB1_15:
	s_or_b64 exec, exec, s[0:1]
                                        ; implicit-def: $vgpr32
                                        ; implicit-def: $vgpr34
                                        ; implicit-def: $vgpr36
.LBB1_16:
	s_andn2_saveexec_b64 s[0:1], s[6:7]
	s_cbranch_execz .LBB1_18
; %bb.17:
	v_ashrrev_i32_e32 v35, 31, v34
	v_lshlrev_b64 v[0:1], 14, v[32:33]
	s_waitcnt lgkmcnt(0)
	v_lshl_add_u64 v[0:1], s[4:5], 0, v[0:1]
	v_lshlrev_b64 v[2:3], 10, v[34:35]
	s_mov_b32 s0, 0
	v_lshl_add_u64 v[0:1], v[0:1], 0, v[2:3]
	v_lshlrev_b32_e32 v2, 1, v36
	v_mov_b32_e32 v3, 0
	s_mov_b32 s1, s0
	v_lshl_add_u64 v[4:5], v[0:1], 0, v[2:3]
	s_mov_b32 s2, s0
	s_mov_b32 s3, s0
	v_mov_b64_e32 v[0:1], s[0:1]
	v_mov_b64_e32 v[2:3], s[2:3]
	global_store_dwordx4 v[4:5], v[0:3], off
	global_store_dwordx4 v[4:5], v[0:3], off offset:16
.LBB1_18:
	s_endpgm
.LBB1_19:
	s_waitcnt lgkmcnt(0)
	v_lshl_add_u64 v[16:17], v[32:33], 3, s[18:19]
	global_load_dwordx2 v[16:17], v[16:17], off
	v_add_u32_e32 v18, 0xfffffe40, v36
	v_mov_b32_e32 v19, 0
	v_lshrrev_b32_e32 v18, 1, v18
	s_waitcnt vmcnt(0)
	v_lshlrev_b64 v[16:17], 8, v[16:17]
	v_lshl_add_u64 v[16:17], s[14:15], 0, v[16:17]
	v_lshl_add_u64 v[16:17], v[18:19], 2, v[16:17]
	global_load_dwordx4 v[20:23], v[16:17], off offset:128
	global_load_dwordx4 v[28:31], v[16:17], off offset:144
	global_load_dwordx4 v[38:41], v[16:17], off
	global_load_dwordx4 v[42:45], v[16:17], off offset:16
	s_waitcnt vmcnt(3)
	v_mul_f32_e32 v16, v1, v20
	v_mul_f32_e32 v17, v0, v20
	v_mul_f32_e32 v18, v3, v21
	v_mul_f32_e32 v19, v2, v21
	v_mul_f32_e32 v20, v5, v22
	v_mul_f32_e32 v21, v4, v22
	v_mul_f32_e32 v22, v7, v23
	v_mul_f32_e32 v23, v6, v23
	s_waitcnt vmcnt(2)
	v_mul_f32_e32 v24, v9, v28
	v_mul_f32_e32 v25, v8, v28
	v_mul_f32_e32 v26, v11, v29
	v_mul_f32_e32 v27, v10, v29
	v_mul_f32_e32 v28, v13, v30
	v_mul_f32_e32 v29, v12, v30
	v_mul_f32_e32 v30, v15, v31
	v_mul_f32_e32 v31, v14, v31
	s_waitcnt vmcnt(1)
	v_fma_f32 v16, v0, v38, -v16
	v_fmac_f32_e32 v17, v1, v38
	v_fma_f32 v18, v2, v39, -v18
	v_fmac_f32_e32 v19, v3, v39
	;; [unrolled: 2-line block ×4, first 2 shown]
	s_waitcnt vmcnt(0)
	v_fma_f32 v24, v8, v42, -v24
	v_fmac_f32_e32 v25, v9, v42
	v_fma_f32 v26, v10, v43, -v26
	v_fmac_f32_e32 v27, v11, v43
	;; [unrolled: 2-line block ×4, first 2 shown]
	v_mov_b64_e32 v[0:1], v[16:17]
	v_mov_b64_e32 v[2:3], v[18:19]
	;; [unrolled: 1-line block ×8, first 2 shown]
	s_or_b64 exec, exec, s[12:13]
	s_and_saveexec_b64 s[2:3], vcc
	s_xor_b64 s[2:3], exec, s[2:3]
	s_cbranch_execz .LBB1_13
.LBB1_20:
	s_waitcnt lgkmcnt(0)
	v_lshl_add_u64 v[16:17], v[32:33], 3, s[10:11]
	global_load_dwordx2 v[16:17], v[16:17], off
	s_waitcnt vmcnt(0)
	v_cmp_lt_i64_e32 vcc, -1, v[16:17]
	s_and_saveexec_b64 s[10:11], vcc
	s_cbranch_execz .LBB1_28
; %bb.21:
	s_and_saveexec_b64 s[12:13], s[0:1]
	s_xor_b64 s[0:1], exec, s[12:13]
	s_cbranch_execnz .LBB1_29
; %bb.22:
	s_andn2_saveexec_b64 s[0:1], s[0:1]
	s_cbranch_execz .LBB1_28
.LBB1_23:
	s_ashr_i32 s20, s16, 31
	v_or_b32_e32 v19, s20, v17
	v_mov_b32_e32 v18, 0
	v_cmp_ne_u64_e32 vcc, 0, v[18:19]
                                        ; implicit-def: $vgpr20_vgpr21
	s_and_saveexec_b64 s[0:1], vcc
	s_xor_b64 s[12:13], exec, s[0:1]
	s_cbranch_execz .LBB1_25
; %bb.24:
	s_add_u32 s0, s16, s20
	s_mov_b32 s14, s20
	s_mov_b32 s15, s20
	s_addc_u32 s1, s20, s20
	s_xor_b64 s[18:19], s[0:1], s[14:15]
	v_cvt_f32_u32_e32 v19, s18
	v_cvt_f32_u32_e32 v20, s19
	s_sub_u32 s0, 0, s18
	s_subb_u32 s1, 0, s19
	v_mov_b32_e32 v23, v18
	v_fmamk_f32 v19, v20, 0x4f800000, v19
	v_rcp_f32_e32 v19, v19
	s_nop 0
	v_mul_f32_e32 v19, 0x5f7ffffc, v19
	v_mul_f32_e32 v20, 0x2f800000, v19
	v_trunc_f32_e32 v20, v20
	v_fmamk_f32 v19, v20, 0xcf800000, v19
	v_cvt_u32_f32_e32 v24, v20
	v_cvt_u32_f32_e32 v19, v19
	v_mul_lo_u32 v20, s0, v24
	v_mul_hi_u32 v22, s0, v19
	v_mul_lo_u32 v21, s1, v19
	v_add_u32_e32 v20, v22, v20
	v_mul_lo_u32 v25, s0, v19
	v_add_u32_e32 v26, v20, v21
	v_mul_hi_u32 v21, v19, v26
	v_mul_lo_u32 v20, v19, v26
	v_mul_hi_u32 v22, v19, v25
	v_lshl_add_u64 v[20:21], v[22:23], 0, v[20:21]
	v_mul_hi_u32 v23, v24, v25
	v_mul_lo_u32 v25, v24, v25
	v_add_co_u32_e32 v20, vcc, v20, v25
	v_mul_hi_u32 v22, v24, v26
	s_nop 0
	v_addc_co_u32_e32 v20, vcc, v21, v23, vcc
	v_mov_b32_e32 v21, v18
	s_nop 0
	v_addc_co_u32_e32 v23, vcc, 0, v22, vcc
	v_mul_lo_u32 v22, v24, v26
	v_lshl_add_u64 v[20:21], v[20:21], 0, v[22:23]
	v_add_co_u32_e32 v19, vcc, v19, v20
	v_mul_lo_u32 v22, s0, v19
	s_nop 0
	v_addc_co_u32_e32 v24, vcc, v24, v21, vcc
	v_mul_lo_u32 v20, s0, v24
	v_mul_hi_u32 v21, s0, v19
	v_add_u32_e32 v20, v21, v20
	v_mul_lo_u32 v21, s1, v19
	v_add_u32_e32 v25, v20, v21
	v_mul_hi_u32 v27, v24, v22
	v_mul_lo_u32 v28, v24, v22
	v_mul_hi_u32 v21, v19, v25
	v_mul_lo_u32 v20, v19, v25
	v_mul_hi_u32 v22, v19, v22
	v_mov_b32_e32 v23, v18
	v_lshl_add_u64 v[20:21], v[22:23], 0, v[20:21]
	v_add_co_u32_e32 v20, vcc, v20, v28
	v_mul_hi_u32 v26, v24, v25
	s_nop 0
	v_addc_co_u32_e32 v20, vcc, v21, v27, vcc
	v_mul_lo_u32 v22, v24, v25
	s_nop 0
	v_addc_co_u32_e32 v23, vcc, 0, v26, vcc
	v_mov_b32_e32 v21, v18
	v_lshl_add_u64 v[20:21], v[20:21], 0, v[22:23]
	v_add_co_u32_e32 v19, vcc, v19, v20
	v_ashrrev_i32_e32 v20, 31, v17
	s_nop 0
	v_addc_co_u32_e32 v26, vcc, v24, v21, vcc
	v_mov_b32_e32 v21, v20
	v_lshl_add_u64 v[22:23], v[16:17], 0, v[20:21]
	v_xor_b32_e32 v28, v22, v20
	v_xor_b32_e32 v21, v23, v20
	v_mad_u64_u32 v[22:23], s[0:1], v28, v26, 0
	v_mul_hi_u32 v24, v28, v19
	v_mov_b32_e32 v25, v18
	v_lshl_add_u64 v[22:23], v[24:25], 0, v[22:23]
	v_mad_u64_u32 v[24:25], s[0:1], v21, v26, 0
	v_mad_u64_u32 v[26:27], s[0:1], v21, v19, 0
	v_add_co_u32_e32 v19, vcc, v22, v26
	s_nop 1
	v_addc_co_u32_e32 v22, vcc, v23, v27, vcc
	v_mov_b32_e32 v23, v18
	s_nop 0
	v_addc_co_u32_e32 v25, vcc, 0, v25, vcc
	v_lshl_add_u64 v[18:19], v[22:23], 0, v[24:25]
	v_mul_lo_u32 v24, s19, v18
	v_mul_lo_u32 v25, s18, v19
	v_mad_u64_u32 v[22:23], s[0:1], s18, v18, 0
	v_add3_u32 v26, v23, v25, v24
	v_sub_u32_e32 v23, v21, v26
	v_mov_b32_e32 v24, s19
	v_sub_co_u32_e32 v27, vcc, v28, v22
	s_nop 1
	v_subb_co_u32_e64 v22, s[0:1], v23, v24, vcc
	v_subrev_co_u32_e64 v23, s[0:1], s18, v27
	v_subb_co_u32_e32 v21, vcc, v21, v26, vcc
	s_nop 0
	v_subbrev_co_u32_e64 v22, s[0:1], 0, v22, s[0:1]
	v_cmp_le_u32_e64 s[0:1], s19, v22
	v_cmp_le_u32_e32 vcc, s19, v21
	s_nop 0
	v_cndmask_b32_e64 v24, 0, -1, s[0:1]
	v_cmp_le_u32_e64 s[0:1], s18, v23
	s_nop 1
	v_cndmask_b32_e64 v23, 0, -1, s[0:1]
	v_cmp_eq_u32_e64 s[0:1], s19, v22
	s_nop 1
	v_cndmask_b32_e64 v28, v24, v23, s[0:1]
	v_lshl_add_u64 v[22:23], v[18:19], 0, 2
	v_lshl_add_u64 v[24:25], v[18:19], 0, 1
	v_cmp_ne_u32_e64 s[0:1], 0, v28
	s_nop 1
	v_cndmask_b32_e64 v23, v25, v23, s[0:1]
	v_cndmask_b32_e64 v25, 0, -1, vcc
	v_cmp_le_u32_e32 vcc, s18, v27
	s_nop 1
	v_cndmask_b32_e64 v26, 0, -1, vcc
	v_cmp_eq_u32_e32 vcc, s19, v21
	s_nop 1
	v_cndmask_b32_e32 v21, v25, v26, vcc
	v_cmp_ne_u32_e32 vcc, 0, v21
	v_cndmask_b32_e64 v21, v24, v22, s[0:1]
	s_nop 0
	v_cndmask_b32_e32 v18, v18, v21, vcc
	v_xor_b32_e32 v21, s15, v20
	v_xor_b32_e32 v20, s14, v20
	v_cndmask_b32_e32 v19, v19, v23, vcc
	v_xor_b32_e32 v18, v18, v20
	v_xor_b32_e32 v19, v19, v21
	v_sub_co_u32_e32 v20, vcc, v18, v20
	s_nop 1
	v_subb_co_u32_e32 v21, vcc, v19, v21, vcc
.LBB1_25:
	s_andn2_saveexec_b64 s[0:1], s[12:13]
	s_cbranch_execz .LBB1_27
; %bb.26:
	v_cvt_f32_u32_e32 v18, s16
	s_sub_i32 s12, 0, s16
	v_rcp_iflag_f32_e32 v18, v18
	s_nop 0
	v_mul_f32_e32 v18, 0x4f7ffffe, v18
	v_cvt_u32_f32_e32 v18, v18
	v_mul_lo_u32 v19, s12, v18
	v_mul_hi_u32 v19, v18, v19
	v_add_u32_e32 v18, v18, v19
	v_mul_hi_u32 v18, v16, v18
	v_mul_lo_u32 v19, v18, s16
	v_sub_u32_e32 v19, v16, v19
	v_add_u32_e32 v20, 1, v18
	v_subrev_u32_e32 v21, s16, v19
	v_cmp_le_u32_e32 vcc, s16, v19
	s_nop 1
	v_cndmask_b32_e32 v19, v19, v21, vcc
	v_cndmask_b32_e32 v18, v18, v20, vcc
	v_add_u32_e32 v20, 1, v18
	v_cmp_le_u32_e32 vcc, s16, v19
	v_mov_b32_e32 v21, 0
	s_nop 0
	v_cndmask_b32_e32 v20, v18, v20, vcc
.LBB1_27:
	s_or_b64 exec, exec, s[0:1]
	s_ashr_i32 s12, s17, 31
	v_mov_b64_e32 v[18:19], s[8:9]
	v_mad_u64_u32 v[18:19], s[0:1], v20, s17, v[18:19]
	v_mul_lo_u32 v22, v21, s17
	v_mul_lo_u32 v23, v20, s12
	v_add3_u32 v19, v22, v19, v23
	v_mul_lo_u32 v22, v21, s16
	v_mul_lo_u32 v23, v20, s20
	v_mad_u64_u32 v[20:21], s[0:1], v20, s16, 0
	v_add3_u32 v21, v21, v23, v22
	v_sub_co_u32_e32 v16, vcc, v16, v20
	s_movk_i32 s8, 0x240
	s_nop 0
	v_subb_co_u32_e32 v20, vcc, v17, v21, vcc
	v_mad_u64_u32 v[16:17], s[0:1], v16, s8, v[18:19]
	v_mov_b32_e32 v18, v17
	v_mad_u64_u32 v[18:19], s[0:1], v20, s8, v[18:19]
	v_mov_b32_e32 v17, v18
	v_cvt_f16_f32_e32 v18, v0
	v_cvt_f16_f32_e32 v19, v1
	;; [unrolled: 1-line block ×16, first 2 shown]
	v_lshlrev_b32_e32 v0, 1, v36
	v_mov_b32_e32 v1, 0
	v_lshl_add_u64 v[4:5], v[16:17], 0, v[0:1]
	v_pack_b32_f16 v3, v3, v6
	v_pack_b32_f16 v2, v2, v22
	;; [unrolled: 1-line block ×4, first 2 shown]
	global_store_dwordx4 v[4:5], v[0:3], off offset:-448
	s_nop 1
	v_pack_b32_f16 v3, v13, v15
	v_pack_b32_f16 v2, v11, v12
	;; [unrolled: 1-line block ×4, first 2 shown]
	global_store_dwordx4 v[4:5], v[0:3], off offset:-432
.LBB1_28:
	s_or_b64 exec, exec, s[10:11]
                                        ; implicit-def: $vgpr0_vgpr1_vgpr2_vgpr3_vgpr4_vgpr5_vgpr6_vgpr7_vgpr8_vgpr9_vgpr10_vgpr11_vgpr12_vgpr13_vgpr14_vgpr15
                                        ; implicit-def: $vgpr32
                                        ; implicit-def: $vgpr34
                                        ; implicit-def: $vgpr36
	s_andn2_saveexec_b64 s[0:1], s[2:3]
	s_cbranch_execnz .LBB1_14
	s_branch .LBB1_15
.LBB1_29:
	s_trap 2
	; divergent unreachable
                                        ; implicit-def: $vgpr16_vgpr17
                                        ; implicit-def: $vgpr0_vgpr1_vgpr2_vgpr3_vgpr4_vgpr5_vgpr6_vgpr7_vgpr8_vgpr9_vgpr10_vgpr11_vgpr12_vgpr13_vgpr14_vgpr15
                                        ; implicit-def: $vgpr36
	s_andn2_saveexec_b64 s[0:1], s[0:1]
	s_cbranch_execnz .LBB1_23
	s_branch .LBB1_28
	.section	.rodata,"a",@progbits
	.p2align	6, 0x0
	.amdhsa_kernel _ZN4vllm21deepseek_v4_fused_ops47fusedDeepseekV4QNormRopeKVRopeQuantInsertKernelIN3c104HalfELi16EEEvPKT_PS4_S6_PhPKlSA_PKffiiiii
		.amdhsa_group_segment_fixed_size 0
		.amdhsa_private_segment_fixed_size 0
		.amdhsa_kernarg_size 336
		.amdhsa_user_sgpr_count 2
		.amdhsa_user_sgpr_dispatch_ptr 0
		.amdhsa_user_sgpr_queue_ptr 0
		.amdhsa_user_sgpr_kernarg_segment_ptr 1
		.amdhsa_user_sgpr_dispatch_id 0
		.amdhsa_user_sgpr_kernarg_preload_length 0
		.amdhsa_user_sgpr_kernarg_preload_offset 0
		.amdhsa_user_sgpr_private_segment_size 0
		.amdhsa_uses_dynamic_stack 0
		.amdhsa_enable_private_segment 0
		.amdhsa_system_sgpr_workgroup_id_x 1
		.amdhsa_system_sgpr_workgroup_id_y 0
		.amdhsa_system_sgpr_workgroup_id_z 0
		.amdhsa_system_sgpr_workgroup_info 0
		.amdhsa_system_vgpr_workitem_id 0
		.amdhsa_next_free_vgpr 46
		.amdhsa_next_free_sgpr 24
		.amdhsa_accum_offset 48
		.amdhsa_reserve_vcc 1
		.amdhsa_float_round_mode_32 0
		.amdhsa_float_round_mode_16_64 0
		.amdhsa_float_denorm_mode_32 3
		.amdhsa_float_denorm_mode_16_64 3
		.amdhsa_dx10_clamp 1
		.amdhsa_ieee_mode 1
		.amdhsa_fp16_overflow 0
		.amdhsa_tg_split 0
		.amdhsa_exception_fp_ieee_invalid_op 0
		.amdhsa_exception_fp_denorm_src 0
		.amdhsa_exception_fp_ieee_div_zero 0
		.amdhsa_exception_fp_ieee_overflow 0
		.amdhsa_exception_fp_ieee_underflow 0
		.amdhsa_exception_fp_ieee_inexact 0
		.amdhsa_exception_int_div_zero 0
	.end_amdhsa_kernel
	.section	.text._ZN4vllm21deepseek_v4_fused_ops47fusedDeepseekV4QNormRopeKVRopeQuantInsertKernelIN3c104HalfELi16EEEvPKT_PS4_S6_PhPKlSA_PKffiiiii,"axG",@progbits,_ZN4vllm21deepseek_v4_fused_ops47fusedDeepseekV4QNormRopeKVRopeQuantInsertKernelIN3c104HalfELi16EEEvPKT_PS4_S6_PhPKlSA_PKffiiiii,comdat
.Lfunc_end1:
	.size	_ZN4vllm21deepseek_v4_fused_ops47fusedDeepseekV4QNormRopeKVRopeQuantInsertKernelIN3c104HalfELi16EEEvPKT_PS4_S6_PhPKlSA_PKffiiiii, .Lfunc_end1-_ZN4vllm21deepseek_v4_fused_ops47fusedDeepseekV4QNormRopeKVRopeQuantInsertKernelIN3c104HalfELi16EEEvPKT_PS4_S6_PhPKlSA_PKffiiiii
                                        ; -- End function
	.section	.AMDGPU.csdata,"",@progbits
; Kernel info:
; codeLenInByte = 2936
; NumSgprs: 30
; NumVgprs: 46
; NumAgprs: 0
; TotalNumVgprs: 46
; ScratchSize: 0
; MemoryBound: 1
; FloatMode: 240
; IeeeMode: 1
; LDSByteSize: 0 bytes/workgroup (compile time only)
; SGPRBlocks: 3
; VGPRBlocks: 5
; NumSGPRsForWavesPerEU: 30
; NumVGPRsForWavesPerEU: 46
; AccumOffset: 48
; Occupancy: 8
; WaveLimiterHint : 1
; COMPUTE_PGM_RSRC2:SCRATCH_EN: 0
; COMPUTE_PGM_RSRC2:USER_SGPR: 2
; COMPUTE_PGM_RSRC2:TRAP_HANDLER: 0
; COMPUTE_PGM_RSRC2:TGID_X_EN: 1
; COMPUTE_PGM_RSRC2:TGID_Y_EN: 0
; COMPUTE_PGM_RSRC2:TGID_Z_EN: 0
; COMPUTE_PGM_RSRC2:TIDIG_COMP_CNT: 0
; COMPUTE_PGM_RSRC3_GFX90A:ACCUM_OFFSET: 11
; COMPUTE_PGM_RSRC3_GFX90A:TG_SPLIT: 0
	.section	.text._ZN4vllm21deepseek_v4_fused_ops47fusedDeepseekV4QNormRopeKVRopeQuantInsertKernelIN3c104HalfELi32EEEvPKT_PS4_S6_PhPKlSA_PKffiiiii,"axG",@progbits,_ZN4vllm21deepseek_v4_fused_ops47fusedDeepseekV4QNormRopeKVRopeQuantInsertKernelIN3c104HalfELi32EEEvPKT_PS4_S6_PhPKlSA_PKffiiiii,comdat
	.protected	_ZN4vllm21deepseek_v4_fused_ops47fusedDeepseekV4QNormRopeKVRopeQuantInsertKernelIN3c104HalfELi32EEEvPKT_PS4_S6_PhPKlSA_PKffiiiii ; -- Begin function _ZN4vllm21deepseek_v4_fused_ops47fusedDeepseekV4QNormRopeKVRopeQuantInsertKernelIN3c104HalfELi32EEEvPKT_PS4_S6_PhPKlSA_PKffiiiii
	.globl	_ZN4vllm21deepseek_v4_fused_ops47fusedDeepseekV4QNormRopeKVRopeQuantInsertKernelIN3c104HalfELi32EEEvPKT_PS4_S6_PhPKlSA_PKffiiiii
	.p2align	8
	.type	_ZN4vllm21deepseek_v4_fused_ops47fusedDeepseekV4QNormRopeKVRopeQuantInsertKernelIN3c104HalfELi32EEEvPKT_PS4_S6_PhPKlSA_PKffiiiii,@function
_ZN4vllm21deepseek_v4_fused_ops47fusedDeepseekV4QNormRopeKVRopeQuantInsertKernelIN3c104HalfELi32EEEvPKT_PS4_S6_PhPKlSA_PKffiiiii: ; @_ZN4vllm21deepseek_v4_fused_ops47fusedDeepseekV4QNormRopeKVRopeQuantInsertKernelIN3c104HalfELi32EEEvPKT_PS4_S6_PhPKlSA_PKffiiiii
; %bb.0:
	s_load_dword s3, s[0:1], 0x5c
	s_load_dwordx4 s[12:15], s[0:1], 0x38
	v_lshrrev_b32_e32 v1, 5, v0
	s_waitcnt lgkmcnt(0)
	s_bfe_u32 s3, s3, 0xb0005
	s_mul_i32 s2, s2, s3
	v_add_u32_e32 v1, s2, v1
	s_mov_b32 s2, 0x3e0f83e1
	v_mul_hi_i32 v2, v1, s2
	v_lshrrev_b32_e32 v3, 31, v2
	v_ashrrev_i32_e32 v2, 3, v2
	v_add_u32_e32 v32, v2, v3
	v_cmp_gt_i32_e32 vcc, s13, v32
	s_and_saveexec_b64 s[2:3], vcc
	s_cbranch_execz .LBB2_18
; %bb.1:
	s_load_dwordx2 s[16:17], s[0:1], 0x48
	v_lshl_add_u32 v2, v32, 5, v32
	v_sub_u32_e32 v34, v1, v2
	v_cmp_ne_u32_e64 s[2:3], 32, v34
	v_cmp_gt_i32_e64 s[4:5], s14, v32
	v_cmp_eq_u32_e32 vcc, 32, v34
	s_or_b64 s[4:5], s[2:3], s[4:5]
	s_and_b64 exec, exec, s[4:5]
	s_cbranch_execz .LBB2_18
; %bb.2:
	s_load_dwordx4 s[8:11], s[0:1], 0x18
	s_load_dwordx2 s[18:19], s[0:1], 0x28
	v_cmp_gt_i32_e64 s[4:5], s15, v34
	s_xor_b64 s[6:7], s[2:3], -1
	v_lshlrev_b32_e32 v0, 4, v0
	s_or_b64 s[6:7], s[6:7], s[4:5]
	v_and_b32_e32 v36, 0x1f0, v0
	v_ashrrev_i32_e32 v33, 31, v32
                                        ; implicit-def: $vgpr9
                                        ; implicit-def: $vgpr17
	s_and_saveexec_b64 s[4:5], s[6:7]
	s_cbranch_execz .LBB2_8
; %bb.3:
                                        ; implicit-def: $vgpr0_vgpr1
	s_and_saveexec_b64 s[20:21], vcc
	s_xor_b64 s[20:21], exec, s[20:21]
	s_cbranch_execz .LBB2_5
; %bb.4:
	s_load_dwordx2 s[22:23], s[0:1], 0x10
	v_lshlrev_b64 v[0:1], 10, v[32:33]
	v_lshlrev_b32_e32 v2, 1, v36
	v_mov_b32_e32 v3, 0
	s_waitcnt lgkmcnt(0)
	v_lshl_add_u64 v[0:1], s[22:23], 0, v[0:1]
	v_lshl_add_u64 v[0:1], v[0:1], 0, v[2:3]
.LBB2_5:
	s_andn2_saveexec_b64 s[20:21], s[20:21]
	s_cbranch_execz .LBB2_7
; %bb.6:
	s_load_dwordx2 s[22:23], s[0:1], 0x0
	v_ashrrev_i32_e32 v35, 31, v34
	v_mad_i64_i32 v[0:1], s[14:15], v32, s15, v[34:35]
	v_lshlrev_b64 v[0:1], 10, v[0:1]
	v_lshl_or_b32 v0, v36, 1, v0
	s_waitcnt lgkmcnt(0)
	v_lshl_add_u64 v[0:1], s[22:23], 0, v[0:1]
.LBB2_7:
	s_or_b64 exec, exec, s[20:21]
	global_load_dwordx4 v[14:17], v[0:1], off offset:16
	global_load_dwordx4 v[6:9], v[0:1], off
.LBB2_8:
	s_or_b64 exec, exec, s[4:5]
	s_load_dwordx2 s[4:5], s[0:1], 0x8
	s_load_dwordx2 s[14:15], s[0:1], 0x30
	s_and_saveexec_b64 s[0:1], s[6:7]
	s_xor_b64 s[6:7], exec, s[0:1]
	s_cbranch_execz .LBB2_16
; %bb.9:
	s_waitcnt vmcnt(0)
	v_cvt_f32_f16_sdwa v1, v6 dst_sel:DWORD dst_unused:UNUSED_PAD src0_sel:WORD_1
	v_cvt_f32_f16_e32 v0, v6
	v_cvt_f32_f16_sdwa v3, v7 dst_sel:DWORD dst_unused:UNUSED_PAD src0_sel:WORD_1
	v_cvt_f32_f16_e32 v2, v7
	;; [unrolled: 2-line block ×8, first 2 shown]
	s_and_saveexec_b64 s[20:21], s[2:3]
	s_cbranch_execz .LBB2_11
; %bb.10:
	v_pk_mul_f32 v[16:17], v[0:1], v[0:1]
	v_pk_mul_f32 v[18:19], v[2:3], v[2:3]
	v_add_f32_e32 v16, v16, v17
	v_add_f32_e32 v16, v18, v16
	v_pk_mul_f32 v[20:21], v[4:5], v[4:5]
	v_add_f32_e32 v16, v19, v16
	v_add_f32_e32 v16, v20, v16
	;; [unrolled: 3-line block ×4, first 2 shown]
	v_pk_mul_f32 v[26:27], v[10:11], v[10:11]
	v_add_f32_e32 v16, v25, v16
	v_mbcnt_lo_u32_b32 v17, -1, 0
	v_add_f32_e32 v16, v26, v16
	v_mbcnt_hi_u32_b32 v17, -1, v17
	v_pk_mul_f32 v[28:29], v[12:13], v[12:13]
	v_add_f32_e32 v16, v27, v16
	v_and_b32_e32 v18, 0x60, v17
	v_add_f32_e32 v16, v28, v16
	v_add_u32_e32 v18, 32, v18
	v_xor_b32_e32 v19, 16, v17
	v_pk_mul_f32 v[30:31], v[14:15], v[14:15]
	v_add_f32_e32 v16, v29, v16
	v_cmp_lt_i32_e64 s[0:1], v19, v18
	v_add_f32_e32 v16, v30, v16
	v_add_f32_e32 v16, v31, v16
	v_cndmask_b32_e64 v19, v17, v19, s[0:1]
	v_lshlrev_b32_e32 v19, 2, v19
	ds_bpermute_b32 v19, v19, v16
	s_waitcnt lgkmcnt(0)
	v_add_f32_e32 v16, v16, v19
	v_xor_b32_e32 v19, 8, v17
	v_cmp_lt_i32_e64 s[0:1], v19, v18
	s_nop 1
	v_cndmask_b32_e64 v19, v17, v19, s[0:1]
	v_lshlrev_b32_e32 v19, 2, v19
	ds_bpermute_b32 v19, v19, v16
	s_waitcnt lgkmcnt(0)
	v_add_f32_e32 v16, v16, v19
	v_xor_b32_e32 v19, 4, v17
	v_cmp_lt_i32_e64 s[0:1], v19, v18
	s_nop 1
	;; [unrolled: 8-line block ×4, first 2 shown]
	v_cndmask_b32_e64 v17, v17, v19, s[0:1]
	v_lshlrev_b32_e32 v17, 2, v17
	ds_bpermute_b32 v17, v17, v16
	s_mov_b32 s0, 0x800000
	s_waitcnt lgkmcnt(0)
	v_add_f32_e32 v16, v16, v17
	v_mov_b32_e32 v17, s12
	v_fmamk_f32 v16, v16, 0x3b000000, v17
	v_mul_f32_e32 v17, 0x4b800000, v16
	v_cmp_gt_f32_e64 s[0:1], s0, v16
	s_nop 1
	v_cndmask_b32_e64 v16, v16, v17, s[0:1]
	v_rsq_f32_e32 v16, v16
	s_nop 0
	v_mul_f32_e32 v17, 0x45800000, v16
	v_cndmask_b32_e64 v16, v16, v17, s[0:1]
	v_pk_mul_f32 v[14:15], v[16:17], v[14:15] op_sel_hi:[0,1]
	v_pk_mul_f32 v[12:13], v[16:17], v[12:13] op_sel_hi:[0,1]
	;; [unrolled: 1-line block ×8, first 2 shown]
.LBB2_11:
	s_or_b64 exec, exec, s[20:21]
	s_movk_i32 s0, 0x1c0
	s_movk_i32 s2, 0x1bf
	v_cmp_gt_u32_e64 s[0:1], s0, v36
	v_cmp_lt_u32_e64 s[2:3], s2, v36
	s_and_saveexec_b64 s[12:13], s[2:3]
	s_cbranch_execnz .LBB2_19
; %bb.12:
	s_or_b64 exec, exec, s[12:13]
	s_and_saveexec_b64 s[2:3], vcc
	s_xor_b64 s[2:3], exec, s[2:3]
	s_cbranch_execnz .LBB2_20
.LBB2_13:
	s_andn2_saveexec_b64 s[0:1], s[2:3]
	s_cbranch_execz .LBB2_15
.LBB2_14:
	v_cvt_f16_f32_e32 v16, v0
	v_cvt_f16_f32_e32 v17, v1
	;; [unrolled: 1-line block ×16, first 2 shown]
	v_ashrrev_i32_e32 v35, 31, v34
	v_lshlrev_b64 v[0:1], 15, v[32:33]
	s_waitcnt lgkmcnt(0)
	v_lshl_add_u64 v[0:1], s[4:5], 0, v[0:1]
	v_lshlrev_b64 v[2:3], 10, v[34:35]
	v_lshl_add_u64 v[0:1], v[0:1], 0, v[2:3]
	v_lshlrev_b32_e32 v2, 1, v36
	v_mov_b32_e32 v3, 0
	v_lshl_add_u64 v[4:5], v[0:1], 0, v[2:3]
	v_pack_b32_f16 v3, v6, v7
	v_pack_b32_f16 v2, v20, v21
	;; [unrolled: 1-line block ×4, first 2 shown]
	global_store_dwordx4 v[4:5], v[0:3], off
	s_nop 1
	v_pack_b32_f16 v3, v14, v15
	v_pack_b32_f16 v2, v12, v13
	;; [unrolled: 1-line block ×4, first 2 shown]
	global_store_dwordx4 v[4:5], v[0:3], off offset:16
.LBB2_15:
	s_or_b64 exec, exec, s[0:1]
                                        ; implicit-def: $vgpr32
                                        ; implicit-def: $vgpr34
                                        ; implicit-def: $vgpr36
.LBB2_16:
	s_andn2_saveexec_b64 s[0:1], s[6:7]
	s_cbranch_execz .LBB2_18
; %bb.17:
	v_ashrrev_i32_e32 v35, 31, v34
	v_lshlrev_b64 v[0:1], 15, v[32:33]
	s_waitcnt lgkmcnt(0)
	v_lshl_add_u64 v[0:1], s[4:5], 0, v[0:1]
	v_lshlrev_b64 v[2:3], 10, v[34:35]
	s_mov_b32 s0, 0
	v_lshl_add_u64 v[0:1], v[0:1], 0, v[2:3]
	v_lshlrev_b32_e32 v2, 1, v36
	v_mov_b32_e32 v3, 0
	s_mov_b32 s1, s0
	v_lshl_add_u64 v[4:5], v[0:1], 0, v[2:3]
	s_mov_b32 s2, s0
	s_mov_b32 s3, s0
	v_mov_b64_e32 v[0:1], s[0:1]
	v_mov_b64_e32 v[2:3], s[2:3]
	global_store_dwordx4 v[4:5], v[0:3], off
	global_store_dwordx4 v[4:5], v[0:3], off offset:16
.LBB2_18:
	s_endpgm
.LBB2_19:
	s_waitcnt lgkmcnt(0)
	v_lshl_add_u64 v[16:17], v[32:33], 3, s[18:19]
	global_load_dwordx2 v[16:17], v[16:17], off
	v_add_u32_e32 v18, 0xfffffe40, v36
	v_mov_b32_e32 v19, 0
	v_lshrrev_b32_e32 v18, 1, v18
	s_waitcnt vmcnt(0)
	v_lshlrev_b64 v[16:17], 8, v[16:17]
	v_lshl_add_u64 v[16:17], s[14:15], 0, v[16:17]
	v_lshl_add_u64 v[16:17], v[18:19], 2, v[16:17]
	global_load_dwordx4 v[20:23], v[16:17], off offset:128
	global_load_dwordx4 v[28:31], v[16:17], off offset:144
	global_load_dwordx4 v[38:41], v[16:17], off
	global_load_dwordx4 v[42:45], v[16:17], off offset:16
	s_waitcnt vmcnt(3)
	v_mul_f32_e32 v16, v1, v20
	v_mul_f32_e32 v17, v0, v20
	;; [unrolled: 1-line block ×8, first 2 shown]
	s_waitcnt vmcnt(2)
	v_mul_f32_e32 v24, v9, v28
	v_mul_f32_e32 v25, v8, v28
	;; [unrolled: 1-line block ×8, first 2 shown]
	s_waitcnt vmcnt(1)
	v_fma_f32 v16, v0, v38, -v16
	v_fmac_f32_e32 v17, v1, v38
	v_fma_f32 v18, v2, v39, -v18
	v_fmac_f32_e32 v19, v3, v39
	v_fma_f32 v20, v4, v40, -v20
	v_fmac_f32_e32 v21, v5, v40
	v_fma_f32 v22, v6, v41, -v22
	v_fmac_f32_e32 v23, v7, v41
	s_waitcnt vmcnt(0)
	v_fma_f32 v24, v8, v42, -v24
	v_fmac_f32_e32 v25, v9, v42
	v_fma_f32 v26, v10, v43, -v26
	v_fmac_f32_e32 v27, v11, v43
	;; [unrolled: 2-line block ×4, first 2 shown]
	v_mov_b64_e32 v[0:1], v[16:17]
	v_mov_b64_e32 v[2:3], v[18:19]
	v_mov_b64_e32 v[4:5], v[20:21]
	v_mov_b64_e32 v[6:7], v[22:23]
	v_mov_b64_e32 v[8:9], v[24:25]
	v_mov_b64_e32 v[10:11], v[26:27]
	v_mov_b64_e32 v[12:13], v[28:29]
	v_mov_b64_e32 v[14:15], v[30:31]
	s_or_b64 exec, exec, s[12:13]
	s_and_saveexec_b64 s[2:3], vcc
	s_xor_b64 s[2:3], exec, s[2:3]
	s_cbranch_execz .LBB2_13
.LBB2_20:
	s_waitcnt lgkmcnt(0)
	v_lshl_add_u64 v[16:17], v[32:33], 3, s[10:11]
	global_load_dwordx2 v[16:17], v[16:17], off
	s_waitcnt vmcnt(0)
	v_cmp_lt_i64_e32 vcc, -1, v[16:17]
	s_and_saveexec_b64 s[10:11], vcc
	s_cbranch_execz .LBB2_28
; %bb.21:
	s_and_saveexec_b64 s[12:13], s[0:1]
	s_xor_b64 s[0:1], exec, s[12:13]
	s_cbranch_execnz .LBB2_29
; %bb.22:
	s_andn2_saveexec_b64 s[0:1], s[0:1]
	s_cbranch_execz .LBB2_28
.LBB2_23:
	s_ashr_i32 s20, s16, 31
	v_or_b32_e32 v19, s20, v17
	v_mov_b32_e32 v18, 0
	v_cmp_ne_u64_e32 vcc, 0, v[18:19]
                                        ; implicit-def: $vgpr20_vgpr21
	s_and_saveexec_b64 s[0:1], vcc
	s_xor_b64 s[12:13], exec, s[0:1]
	s_cbranch_execz .LBB2_25
; %bb.24:
	s_add_u32 s0, s16, s20
	s_mov_b32 s14, s20
	s_mov_b32 s15, s20
	s_addc_u32 s1, s20, s20
	s_xor_b64 s[18:19], s[0:1], s[14:15]
	v_cvt_f32_u32_e32 v19, s18
	v_cvt_f32_u32_e32 v20, s19
	s_sub_u32 s0, 0, s18
	s_subb_u32 s1, 0, s19
	v_mov_b32_e32 v23, v18
	v_fmamk_f32 v19, v20, 0x4f800000, v19
	v_rcp_f32_e32 v19, v19
	s_nop 0
	v_mul_f32_e32 v19, 0x5f7ffffc, v19
	v_mul_f32_e32 v20, 0x2f800000, v19
	v_trunc_f32_e32 v20, v20
	v_fmamk_f32 v19, v20, 0xcf800000, v19
	v_cvt_u32_f32_e32 v24, v20
	v_cvt_u32_f32_e32 v19, v19
	v_mul_lo_u32 v20, s0, v24
	v_mul_hi_u32 v22, s0, v19
	v_mul_lo_u32 v21, s1, v19
	v_add_u32_e32 v20, v22, v20
	v_mul_lo_u32 v25, s0, v19
	v_add_u32_e32 v26, v20, v21
	v_mul_hi_u32 v21, v19, v26
	v_mul_lo_u32 v20, v19, v26
	v_mul_hi_u32 v22, v19, v25
	v_lshl_add_u64 v[20:21], v[22:23], 0, v[20:21]
	v_mul_hi_u32 v23, v24, v25
	v_mul_lo_u32 v25, v24, v25
	v_add_co_u32_e32 v20, vcc, v20, v25
	v_mul_hi_u32 v22, v24, v26
	s_nop 0
	v_addc_co_u32_e32 v20, vcc, v21, v23, vcc
	v_mov_b32_e32 v21, v18
	s_nop 0
	v_addc_co_u32_e32 v23, vcc, 0, v22, vcc
	v_mul_lo_u32 v22, v24, v26
	v_lshl_add_u64 v[20:21], v[20:21], 0, v[22:23]
	v_add_co_u32_e32 v19, vcc, v19, v20
	v_mul_lo_u32 v22, s0, v19
	s_nop 0
	v_addc_co_u32_e32 v24, vcc, v24, v21, vcc
	v_mul_lo_u32 v20, s0, v24
	v_mul_hi_u32 v21, s0, v19
	v_add_u32_e32 v20, v21, v20
	v_mul_lo_u32 v21, s1, v19
	v_add_u32_e32 v25, v20, v21
	v_mul_hi_u32 v27, v24, v22
	v_mul_lo_u32 v28, v24, v22
	v_mul_hi_u32 v21, v19, v25
	v_mul_lo_u32 v20, v19, v25
	v_mul_hi_u32 v22, v19, v22
	v_mov_b32_e32 v23, v18
	v_lshl_add_u64 v[20:21], v[22:23], 0, v[20:21]
	v_add_co_u32_e32 v20, vcc, v20, v28
	v_mul_hi_u32 v26, v24, v25
	s_nop 0
	v_addc_co_u32_e32 v20, vcc, v21, v27, vcc
	v_mul_lo_u32 v22, v24, v25
	s_nop 0
	v_addc_co_u32_e32 v23, vcc, 0, v26, vcc
	v_mov_b32_e32 v21, v18
	v_lshl_add_u64 v[20:21], v[20:21], 0, v[22:23]
	v_add_co_u32_e32 v19, vcc, v19, v20
	v_ashrrev_i32_e32 v20, 31, v17
	s_nop 0
	v_addc_co_u32_e32 v26, vcc, v24, v21, vcc
	v_mov_b32_e32 v21, v20
	v_lshl_add_u64 v[22:23], v[16:17], 0, v[20:21]
	v_xor_b32_e32 v28, v22, v20
	v_xor_b32_e32 v21, v23, v20
	v_mad_u64_u32 v[22:23], s[0:1], v28, v26, 0
	v_mul_hi_u32 v24, v28, v19
	v_mov_b32_e32 v25, v18
	v_lshl_add_u64 v[22:23], v[24:25], 0, v[22:23]
	v_mad_u64_u32 v[24:25], s[0:1], v21, v26, 0
	v_mad_u64_u32 v[26:27], s[0:1], v21, v19, 0
	v_add_co_u32_e32 v19, vcc, v22, v26
	s_nop 1
	v_addc_co_u32_e32 v22, vcc, v23, v27, vcc
	v_mov_b32_e32 v23, v18
	s_nop 0
	v_addc_co_u32_e32 v25, vcc, 0, v25, vcc
	v_lshl_add_u64 v[18:19], v[22:23], 0, v[24:25]
	v_mul_lo_u32 v24, s19, v18
	v_mul_lo_u32 v25, s18, v19
	v_mad_u64_u32 v[22:23], s[0:1], s18, v18, 0
	v_add3_u32 v26, v23, v25, v24
	v_sub_u32_e32 v23, v21, v26
	v_mov_b32_e32 v24, s19
	v_sub_co_u32_e32 v27, vcc, v28, v22
	s_nop 1
	v_subb_co_u32_e64 v22, s[0:1], v23, v24, vcc
	v_subrev_co_u32_e64 v23, s[0:1], s18, v27
	v_subb_co_u32_e32 v21, vcc, v21, v26, vcc
	s_nop 0
	v_subbrev_co_u32_e64 v22, s[0:1], 0, v22, s[0:1]
	v_cmp_le_u32_e64 s[0:1], s19, v22
	v_cmp_le_u32_e32 vcc, s19, v21
	s_nop 0
	v_cndmask_b32_e64 v24, 0, -1, s[0:1]
	v_cmp_le_u32_e64 s[0:1], s18, v23
	s_nop 1
	v_cndmask_b32_e64 v23, 0, -1, s[0:1]
	v_cmp_eq_u32_e64 s[0:1], s19, v22
	s_nop 1
	v_cndmask_b32_e64 v28, v24, v23, s[0:1]
	v_lshl_add_u64 v[22:23], v[18:19], 0, 2
	v_lshl_add_u64 v[24:25], v[18:19], 0, 1
	v_cmp_ne_u32_e64 s[0:1], 0, v28
	s_nop 1
	v_cndmask_b32_e64 v23, v25, v23, s[0:1]
	v_cndmask_b32_e64 v25, 0, -1, vcc
	v_cmp_le_u32_e32 vcc, s18, v27
	s_nop 1
	v_cndmask_b32_e64 v26, 0, -1, vcc
	v_cmp_eq_u32_e32 vcc, s19, v21
	s_nop 1
	v_cndmask_b32_e32 v21, v25, v26, vcc
	v_cmp_ne_u32_e32 vcc, 0, v21
	v_cndmask_b32_e64 v21, v24, v22, s[0:1]
	s_nop 0
	v_cndmask_b32_e32 v18, v18, v21, vcc
	v_xor_b32_e32 v21, s15, v20
	v_xor_b32_e32 v20, s14, v20
	v_cndmask_b32_e32 v19, v19, v23, vcc
	v_xor_b32_e32 v18, v18, v20
	v_xor_b32_e32 v19, v19, v21
	v_sub_co_u32_e32 v20, vcc, v18, v20
	s_nop 1
	v_subb_co_u32_e32 v21, vcc, v19, v21, vcc
.LBB2_25:
	s_andn2_saveexec_b64 s[0:1], s[12:13]
	s_cbranch_execz .LBB2_27
; %bb.26:
	v_cvt_f32_u32_e32 v18, s16
	s_sub_i32 s12, 0, s16
	v_rcp_iflag_f32_e32 v18, v18
	s_nop 0
	v_mul_f32_e32 v18, 0x4f7ffffe, v18
	v_cvt_u32_f32_e32 v18, v18
	v_mul_lo_u32 v19, s12, v18
	v_mul_hi_u32 v19, v18, v19
	v_add_u32_e32 v18, v18, v19
	v_mul_hi_u32 v18, v16, v18
	v_mul_lo_u32 v19, v18, s16
	v_sub_u32_e32 v19, v16, v19
	v_add_u32_e32 v20, 1, v18
	v_subrev_u32_e32 v21, s16, v19
	v_cmp_le_u32_e32 vcc, s16, v19
	s_nop 1
	v_cndmask_b32_e32 v19, v19, v21, vcc
	v_cndmask_b32_e32 v18, v18, v20, vcc
	v_add_u32_e32 v20, 1, v18
	v_cmp_le_u32_e32 vcc, s16, v19
	v_mov_b32_e32 v21, 0
	s_nop 0
	v_cndmask_b32_e32 v20, v18, v20, vcc
.LBB2_27:
	s_or_b64 exec, exec, s[0:1]
	s_ashr_i32 s12, s17, 31
	v_mov_b64_e32 v[18:19], s[8:9]
	v_mad_u64_u32 v[18:19], s[0:1], v20, s17, v[18:19]
	v_mul_lo_u32 v22, v21, s17
	v_mul_lo_u32 v23, v20, s12
	v_add3_u32 v19, v22, v19, v23
	v_mul_lo_u32 v22, v21, s16
	v_mul_lo_u32 v23, v20, s20
	v_mad_u64_u32 v[20:21], s[0:1], v20, s16, 0
	v_add3_u32 v21, v21, v23, v22
	v_sub_co_u32_e32 v16, vcc, v16, v20
	s_movk_i32 s8, 0x240
	s_nop 0
	v_subb_co_u32_e32 v20, vcc, v17, v21, vcc
	v_mad_u64_u32 v[16:17], s[0:1], v16, s8, v[18:19]
	v_mov_b32_e32 v18, v17
	v_mad_u64_u32 v[18:19], s[0:1], v20, s8, v[18:19]
	v_mov_b32_e32 v17, v18
	v_cvt_f16_f32_e32 v18, v0
	v_cvt_f16_f32_e32 v19, v1
	;; [unrolled: 1-line block ×16, first 2 shown]
	v_lshlrev_b32_e32 v0, 1, v36
	v_mov_b32_e32 v1, 0
	v_lshl_add_u64 v[4:5], v[16:17], 0, v[0:1]
	v_pack_b32_f16 v3, v3, v6
	v_pack_b32_f16 v2, v2, v22
	;; [unrolled: 1-line block ×4, first 2 shown]
	global_store_dwordx4 v[4:5], v[0:3], off offset:-448
	s_nop 1
	v_pack_b32_f16 v3, v13, v15
	v_pack_b32_f16 v2, v11, v12
	;; [unrolled: 1-line block ×4, first 2 shown]
	global_store_dwordx4 v[4:5], v[0:3], off offset:-432
.LBB2_28:
	s_or_b64 exec, exec, s[10:11]
                                        ; implicit-def: $vgpr0_vgpr1_vgpr2_vgpr3_vgpr4_vgpr5_vgpr6_vgpr7_vgpr8_vgpr9_vgpr10_vgpr11_vgpr12_vgpr13_vgpr14_vgpr15
                                        ; implicit-def: $vgpr32
                                        ; implicit-def: $vgpr34
                                        ; implicit-def: $vgpr36
	s_andn2_saveexec_b64 s[0:1], s[2:3]
	s_cbranch_execnz .LBB2_14
	s_branch .LBB2_15
.LBB2_29:
	s_trap 2
	; divergent unreachable
                                        ; implicit-def: $vgpr16_vgpr17
                                        ; implicit-def: $vgpr0_vgpr1_vgpr2_vgpr3_vgpr4_vgpr5_vgpr6_vgpr7_vgpr8_vgpr9_vgpr10_vgpr11_vgpr12_vgpr13_vgpr14_vgpr15
                                        ; implicit-def: $vgpr36
	s_andn2_saveexec_b64 s[0:1], s[0:1]
	s_cbranch_execnz .LBB2_23
	s_branch .LBB2_28
	.section	.rodata,"a",@progbits
	.p2align	6, 0x0
	.amdhsa_kernel _ZN4vllm21deepseek_v4_fused_ops47fusedDeepseekV4QNormRopeKVRopeQuantInsertKernelIN3c104HalfELi32EEEvPKT_PS4_S6_PhPKlSA_PKffiiiii
		.amdhsa_group_segment_fixed_size 0
		.amdhsa_private_segment_fixed_size 0
		.amdhsa_kernarg_size 336
		.amdhsa_user_sgpr_count 2
		.amdhsa_user_sgpr_dispatch_ptr 0
		.amdhsa_user_sgpr_queue_ptr 0
		.amdhsa_user_sgpr_kernarg_segment_ptr 1
		.amdhsa_user_sgpr_dispatch_id 0
		.amdhsa_user_sgpr_kernarg_preload_length 0
		.amdhsa_user_sgpr_kernarg_preload_offset 0
		.amdhsa_user_sgpr_private_segment_size 0
		.amdhsa_uses_dynamic_stack 0
		.amdhsa_enable_private_segment 0
		.amdhsa_system_sgpr_workgroup_id_x 1
		.amdhsa_system_sgpr_workgroup_id_y 0
		.amdhsa_system_sgpr_workgroup_id_z 0
		.amdhsa_system_sgpr_workgroup_info 0
		.amdhsa_system_vgpr_workitem_id 0
		.amdhsa_next_free_vgpr 46
		.amdhsa_next_free_sgpr 24
		.amdhsa_accum_offset 48
		.amdhsa_reserve_vcc 1
		.amdhsa_float_round_mode_32 0
		.amdhsa_float_round_mode_16_64 0
		.amdhsa_float_denorm_mode_32 3
		.amdhsa_float_denorm_mode_16_64 3
		.amdhsa_dx10_clamp 1
		.amdhsa_ieee_mode 1
		.amdhsa_fp16_overflow 0
		.amdhsa_tg_split 0
		.amdhsa_exception_fp_ieee_invalid_op 0
		.amdhsa_exception_fp_denorm_src 0
		.amdhsa_exception_fp_ieee_div_zero 0
		.amdhsa_exception_fp_ieee_overflow 0
		.amdhsa_exception_fp_ieee_underflow 0
		.amdhsa_exception_fp_ieee_inexact 0
		.amdhsa_exception_int_div_zero 0
	.end_amdhsa_kernel
	.section	.text._ZN4vllm21deepseek_v4_fused_ops47fusedDeepseekV4QNormRopeKVRopeQuantInsertKernelIN3c104HalfELi32EEEvPKT_PS4_S6_PhPKlSA_PKffiiiii,"axG",@progbits,_ZN4vllm21deepseek_v4_fused_ops47fusedDeepseekV4QNormRopeKVRopeQuantInsertKernelIN3c104HalfELi32EEEvPKT_PS4_S6_PhPKlSA_PKffiiiii,comdat
.Lfunc_end2:
	.size	_ZN4vllm21deepseek_v4_fused_ops47fusedDeepseekV4QNormRopeKVRopeQuantInsertKernelIN3c104HalfELi32EEEvPKT_PS4_S6_PhPKlSA_PKffiiiii, .Lfunc_end2-_ZN4vllm21deepseek_v4_fused_ops47fusedDeepseekV4QNormRopeKVRopeQuantInsertKernelIN3c104HalfELi32EEEvPKT_PS4_S6_PhPKlSA_PKffiiiii
                                        ; -- End function
	.section	.AMDGPU.csdata,"",@progbits
; Kernel info:
; codeLenInByte = 2936
; NumSgprs: 30
; NumVgprs: 46
; NumAgprs: 0
; TotalNumVgprs: 46
; ScratchSize: 0
; MemoryBound: 1
; FloatMode: 240
; IeeeMode: 1
; LDSByteSize: 0 bytes/workgroup (compile time only)
; SGPRBlocks: 3
; VGPRBlocks: 5
; NumSGPRsForWavesPerEU: 30
; NumVGPRsForWavesPerEU: 46
; AccumOffset: 48
; Occupancy: 8
; WaveLimiterHint : 1
; COMPUTE_PGM_RSRC2:SCRATCH_EN: 0
; COMPUTE_PGM_RSRC2:USER_SGPR: 2
; COMPUTE_PGM_RSRC2:TRAP_HANDLER: 0
; COMPUTE_PGM_RSRC2:TGID_X_EN: 1
; COMPUTE_PGM_RSRC2:TGID_Y_EN: 0
; COMPUTE_PGM_RSRC2:TGID_Z_EN: 0
; COMPUTE_PGM_RSRC2:TIDIG_COMP_CNT: 0
; COMPUTE_PGM_RSRC3_GFX90A:ACCUM_OFFSET: 11
; COMPUTE_PGM_RSRC3_GFX90A:TG_SPLIT: 0
	.section	.text._ZN4vllm21deepseek_v4_fused_ops47fusedDeepseekV4QNormRopeKVRopeQuantInsertKernelIN3c104HalfELi64EEEvPKT_PS4_S6_PhPKlSA_PKffiiiii,"axG",@progbits,_ZN4vllm21deepseek_v4_fused_ops47fusedDeepseekV4QNormRopeKVRopeQuantInsertKernelIN3c104HalfELi64EEEvPKT_PS4_S6_PhPKlSA_PKffiiiii,comdat
	.protected	_ZN4vllm21deepseek_v4_fused_ops47fusedDeepseekV4QNormRopeKVRopeQuantInsertKernelIN3c104HalfELi64EEEvPKT_PS4_S6_PhPKlSA_PKffiiiii ; -- Begin function _ZN4vllm21deepseek_v4_fused_ops47fusedDeepseekV4QNormRopeKVRopeQuantInsertKernelIN3c104HalfELi64EEEvPKT_PS4_S6_PhPKlSA_PKffiiiii
	.globl	_ZN4vllm21deepseek_v4_fused_ops47fusedDeepseekV4QNormRopeKVRopeQuantInsertKernelIN3c104HalfELi64EEEvPKT_PS4_S6_PhPKlSA_PKffiiiii
	.p2align	8
	.type	_ZN4vllm21deepseek_v4_fused_ops47fusedDeepseekV4QNormRopeKVRopeQuantInsertKernelIN3c104HalfELi64EEEvPKT_PS4_S6_PhPKlSA_PKffiiiii,@function
_ZN4vllm21deepseek_v4_fused_ops47fusedDeepseekV4QNormRopeKVRopeQuantInsertKernelIN3c104HalfELi64EEEvPKT_PS4_S6_PhPKlSA_PKffiiiii: ; @_ZN4vllm21deepseek_v4_fused_ops47fusedDeepseekV4QNormRopeKVRopeQuantInsertKernelIN3c104HalfELi64EEEvPKT_PS4_S6_PhPKlSA_PKffiiiii
; %bb.0:
	s_load_dword s3, s[0:1], 0x5c
	s_load_dwordx4 s[12:15], s[0:1], 0x38
	v_lshrrev_b32_e32 v1, 5, v0
	s_waitcnt lgkmcnt(0)
	s_bfe_u32 s3, s3, 0xb0005
	s_mul_i32 s2, s2, s3
	v_add_u32_e32 v1, s2, v1
	s_mov_b32 s2, 0x7e07e07f
	v_mul_hi_i32 v2, v1, s2
	v_lshrrev_b32_e32 v3, 31, v2
	v_ashrrev_i32_e32 v2, 5, v2
	v_add_u32_e32 v32, v2, v3
	v_cmp_gt_i32_e32 vcc, s13, v32
	s_and_saveexec_b64 s[2:3], vcc
	s_cbranch_execz .LBB3_18
; %bb.1:
	s_load_dwordx2 s[16:17], s[0:1], 0x48
	v_lshl_add_u32 v2, v32, 6, v32
	v_sub_u32_e32 v34, v1, v2
	v_cmp_ne_u32_e64 s[2:3], 64, v34
	v_cmp_gt_i32_e64 s[4:5], s14, v32
	v_cmp_eq_u32_e32 vcc, 64, v34
	s_or_b64 s[4:5], s[2:3], s[4:5]
	s_and_b64 exec, exec, s[4:5]
	s_cbranch_execz .LBB3_18
; %bb.2:
	s_load_dwordx4 s[8:11], s[0:1], 0x18
	s_load_dwordx2 s[18:19], s[0:1], 0x28
	v_cmp_gt_i32_e64 s[4:5], s15, v34
	s_xor_b64 s[6:7], s[2:3], -1
	v_lshlrev_b32_e32 v0, 4, v0
	s_or_b64 s[6:7], s[6:7], s[4:5]
	v_and_b32_e32 v36, 0x1f0, v0
	v_ashrrev_i32_e32 v33, 31, v32
                                        ; implicit-def: $vgpr9
                                        ; implicit-def: $vgpr17
	s_and_saveexec_b64 s[4:5], s[6:7]
	s_cbranch_execz .LBB3_8
; %bb.3:
                                        ; implicit-def: $vgpr0_vgpr1
	s_and_saveexec_b64 s[20:21], vcc
	s_xor_b64 s[20:21], exec, s[20:21]
	s_cbranch_execz .LBB3_5
; %bb.4:
	s_load_dwordx2 s[22:23], s[0:1], 0x10
	v_lshlrev_b64 v[0:1], 10, v[32:33]
	v_lshlrev_b32_e32 v2, 1, v36
	v_mov_b32_e32 v3, 0
	s_waitcnt lgkmcnt(0)
	v_lshl_add_u64 v[0:1], s[22:23], 0, v[0:1]
	v_lshl_add_u64 v[0:1], v[0:1], 0, v[2:3]
.LBB3_5:
	s_andn2_saveexec_b64 s[20:21], s[20:21]
	s_cbranch_execz .LBB3_7
; %bb.6:
	s_load_dwordx2 s[22:23], s[0:1], 0x0
	v_ashrrev_i32_e32 v35, 31, v34
	v_mad_i64_i32 v[0:1], s[14:15], v32, s15, v[34:35]
	v_lshlrev_b64 v[0:1], 10, v[0:1]
	v_lshl_or_b32 v0, v36, 1, v0
	s_waitcnt lgkmcnt(0)
	v_lshl_add_u64 v[0:1], s[22:23], 0, v[0:1]
.LBB3_7:
	s_or_b64 exec, exec, s[20:21]
	global_load_dwordx4 v[14:17], v[0:1], off offset:16
	global_load_dwordx4 v[6:9], v[0:1], off
.LBB3_8:
	s_or_b64 exec, exec, s[4:5]
	s_load_dwordx2 s[4:5], s[0:1], 0x8
	s_load_dwordx2 s[14:15], s[0:1], 0x30
	s_and_saveexec_b64 s[0:1], s[6:7]
	s_xor_b64 s[6:7], exec, s[0:1]
	s_cbranch_execz .LBB3_16
; %bb.9:
	s_waitcnt vmcnt(0)
	v_cvt_f32_f16_sdwa v1, v6 dst_sel:DWORD dst_unused:UNUSED_PAD src0_sel:WORD_1
	v_cvt_f32_f16_e32 v0, v6
	v_cvt_f32_f16_sdwa v3, v7 dst_sel:DWORD dst_unused:UNUSED_PAD src0_sel:WORD_1
	v_cvt_f32_f16_e32 v2, v7
	;; [unrolled: 2-line block ×8, first 2 shown]
	s_and_saveexec_b64 s[20:21], s[2:3]
	s_cbranch_execz .LBB3_11
; %bb.10:
	v_pk_mul_f32 v[16:17], v[0:1], v[0:1]
	v_pk_mul_f32 v[18:19], v[2:3], v[2:3]
	v_add_f32_e32 v16, v16, v17
	v_add_f32_e32 v16, v18, v16
	v_pk_mul_f32 v[20:21], v[4:5], v[4:5]
	v_add_f32_e32 v16, v19, v16
	v_add_f32_e32 v16, v20, v16
	;; [unrolled: 3-line block ×4, first 2 shown]
	v_pk_mul_f32 v[26:27], v[10:11], v[10:11]
	v_add_f32_e32 v16, v25, v16
	v_mbcnt_lo_u32_b32 v17, -1, 0
	v_add_f32_e32 v16, v26, v16
	v_mbcnt_hi_u32_b32 v17, -1, v17
	v_pk_mul_f32 v[28:29], v[12:13], v[12:13]
	v_add_f32_e32 v16, v27, v16
	v_and_b32_e32 v18, 0x60, v17
	v_add_f32_e32 v16, v28, v16
	v_add_u32_e32 v18, 32, v18
	v_xor_b32_e32 v19, 16, v17
	v_pk_mul_f32 v[30:31], v[14:15], v[14:15]
	v_add_f32_e32 v16, v29, v16
	v_cmp_lt_i32_e64 s[0:1], v19, v18
	v_add_f32_e32 v16, v30, v16
	v_add_f32_e32 v16, v31, v16
	v_cndmask_b32_e64 v19, v17, v19, s[0:1]
	v_lshlrev_b32_e32 v19, 2, v19
	ds_bpermute_b32 v19, v19, v16
	s_waitcnt lgkmcnt(0)
	v_add_f32_e32 v16, v16, v19
	v_xor_b32_e32 v19, 8, v17
	v_cmp_lt_i32_e64 s[0:1], v19, v18
	s_nop 1
	v_cndmask_b32_e64 v19, v17, v19, s[0:1]
	v_lshlrev_b32_e32 v19, 2, v19
	ds_bpermute_b32 v19, v19, v16
	s_waitcnt lgkmcnt(0)
	v_add_f32_e32 v16, v16, v19
	v_xor_b32_e32 v19, 4, v17
	v_cmp_lt_i32_e64 s[0:1], v19, v18
	s_nop 1
	;; [unrolled: 8-line block ×4, first 2 shown]
	v_cndmask_b32_e64 v17, v17, v19, s[0:1]
	v_lshlrev_b32_e32 v17, 2, v17
	ds_bpermute_b32 v17, v17, v16
	s_mov_b32 s0, 0x800000
	s_waitcnt lgkmcnt(0)
	v_add_f32_e32 v16, v16, v17
	v_mov_b32_e32 v17, s12
	v_fmamk_f32 v16, v16, 0x3b000000, v17
	v_mul_f32_e32 v17, 0x4b800000, v16
	v_cmp_gt_f32_e64 s[0:1], s0, v16
	s_nop 1
	v_cndmask_b32_e64 v16, v16, v17, s[0:1]
	v_rsq_f32_e32 v16, v16
	s_nop 0
	v_mul_f32_e32 v17, 0x45800000, v16
	v_cndmask_b32_e64 v16, v16, v17, s[0:1]
	v_pk_mul_f32 v[14:15], v[16:17], v[14:15] op_sel_hi:[0,1]
	v_pk_mul_f32 v[12:13], v[16:17], v[12:13] op_sel_hi:[0,1]
	;; [unrolled: 1-line block ×8, first 2 shown]
.LBB3_11:
	s_or_b64 exec, exec, s[20:21]
	s_movk_i32 s0, 0x1c0
	s_movk_i32 s2, 0x1bf
	v_cmp_gt_u32_e64 s[0:1], s0, v36
	v_cmp_lt_u32_e64 s[2:3], s2, v36
	s_and_saveexec_b64 s[12:13], s[2:3]
	s_cbranch_execnz .LBB3_19
; %bb.12:
	s_or_b64 exec, exec, s[12:13]
	s_and_saveexec_b64 s[2:3], vcc
	s_xor_b64 s[2:3], exec, s[2:3]
	s_cbranch_execnz .LBB3_20
.LBB3_13:
	s_andn2_saveexec_b64 s[0:1], s[2:3]
	s_cbranch_execz .LBB3_15
.LBB3_14:
	v_cvt_f16_f32_e32 v16, v0
	v_cvt_f16_f32_e32 v17, v1
	v_cvt_f16_f32_e32 v18, v2
	v_cvt_f16_f32_e32 v19, v3
	v_cvt_f16_f32_e32 v20, v4
	v_cvt_f16_f32_e32 v21, v5
	v_cvt_f16_f32_e32 v6, v6
	v_cvt_f16_f32_e32 v7, v7
	v_cvt_f16_f32_e32 v8, v8
	v_cvt_f16_f32_e32 v9, v9
	v_cvt_f16_f32_e32 v10, v10
	v_cvt_f16_f32_e32 v11, v11
	v_cvt_f16_f32_e32 v12, v12
	v_cvt_f16_f32_e32 v13, v13
	v_cvt_f16_f32_e32 v14, v14
	v_cvt_f16_f32_e32 v15, v15
	v_ashrrev_i32_e32 v35, 31, v34
	v_lshlrev_b64 v[0:1], 16, v[32:33]
	s_waitcnt lgkmcnt(0)
	v_lshl_add_u64 v[0:1], s[4:5], 0, v[0:1]
	v_lshlrev_b64 v[2:3], 10, v[34:35]
	v_lshl_add_u64 v[0:1], v[0:1], 0, v[2:3]
	v_lshlrev_b32_e32 v2, 1, v36
	v_mov_b32_e32 v3, 0
	v_lshl_add_u64 v[4:5], v[0:1], 0, v[2:3]
	v_pack_b32_f16 v3, v6, v7
	v_pack_b32_f16 v2, v20, v21
	;; [unrolled: 1-line block ×4, first 2 shown]
	global_store_dwordx4 v[4:5], v[0:3], off
	s_nop 1
	v_pack_b32_f16 v3, v14, v15
	v_pack_b32_f16 v2, v12, v13
	;; [unrolled: 1-line block ×4, first 2 shown]
	global_store_dwordx4 v[4:5], v[0:3], off offset:16
.LBB3_15:
	s_or_b64 exec, exec, s[0:1]
                                        ; implicit-def: $vgpr32
                                        ; implicit-def: $vgpr34
                                        ; implicit-def: $vgpr36
.LBB3_16:
	s_andn2_saveexec_b64 s[0:1], s[6:7]
	s_cbranch_execz .LBB3_18
; %bb.17:
	v_ashrrev_i32_e32 v35, 31, v34
	v_lshlrev_b64 v[0:1], 16, v[32:33]
	s_waitcnt lgkmcnt(0)
	v_lshl_add_u64 v[0:1], s[4:5], 0, v[0:1]
	v_lshlrev_b64 v[2:3], 10, v[34:35]
	s_mov_b32 s0, 0
	v_lshl_add_u64 v[0:1], v[0:1], 0, v[2:3]
	v_lshlrev_b32_e32 v2, 1, v36
	v_mov_b32_e32 v3, 0
	s_mov_b32 s1, s0
	v_lshl_add_u64 v[4:5], v[0:1], 0, v[2:3]
	s_mov_b32 s2, s0
	s_mov_b32 s3, s0
	v_mov_b64_e32 v[0:1], s[0:1]
	v_mov_b64_e32 v[2:3], s[2:3]
	global_store_dwordx4 v[4:5], v[0:3], off
	global_store_dwordx4 v[4:5], v[0:3], off offset:16
.LBB3_18:
	s_endpgm
.LBB3_19:
	s_waitcnt lgkmcnt(0)
	v_lshl_add_u64 v[16:17], v[32:33], 3, s[18:19]
	global_load_dwordx2 v[16:17], v[16:17], off
	v_add_u32_e32 v18, 0xfffffe40, v36
	v_mov_b32_e32 v19, 0
	v_lshrrev_b32_e32 v18, 1, v18
	s_waitcnt vmcnt(0)
	v_lshlrev_b64 v[16:17], 8, v[16:17]
	v_lshl_add_u64 v[16:17], s[14:15], 0, v[16:17]
	v_lshl_add_u64 v[16:17], v[18:19], 2, v[16:17]
	global_load_dwordx4 v[20:23], v[16:17], off offset:128
	global_load_dwordx4 v[28:31], v[16:17], off offset:144
	global_load_dwordx4 v[38:41], v[16:17], off
	global_load_dwordx4 v[42:45], v[16:17], off offset:16
	s_waitcnt vmcnt(3)
	v_mul_f32_e32 v16, v1, v20
	v_mul_f32_e32 v17, v0, v20
	;; [unrolled: 1-line block ×8, first 2 shown]
	s_waitcnt vmcnt(2)
	v_mul_f32_e32 v24, v9, v28
	v_mul_f32_e32 v25, v8, v28
	;; [unrolled: 1-line block ×8, first 2 shown]
	s_waitcnt vmcnt(1)
	v_fma_f32 v16, v0, v38, -v16
	v_fmac_f32_e32 v17, v1, v38
	v_fma_f32 v18, v2, v39, -v18
	v_fmac_f32_e32 v19, v3, v39
	;; [unrolled: 2-line block ×4, first 2 shown]
	s_waitcnt vmcnt(0)
	v_fma_f32 v24, v8, v42, -v24
	v_fmac_f32_e32 v25, v9, v42
	v_fma_f32 v26, v10, v43, -v26
	v_fmac_f32_e32 v27, v11, v43
	;; [unrolled: 2-line block ×4, first 2 shown]
	v_mov_b64_e32 v[0:1], v[16:17]
	v_mov_b64_e32 v[2:3], v[18:19]
	;; [unrolled: 1-line block ×8, first 2 shown]
	s_or_b64 exec, exec, s[12:13]
	s_and_saveexec_b64 s[2:3], vcc
	s_xor_b64 s[2:3], exec, s[2:3]
	s_cbranch_execz .LBB3_13
.LBB3_20:
	s_waitcnt lgkmcnt(0)
	v_lshl_add_u64 v[16:17], v[32:33], 3, s[10:11]
	global_load_dwordx2 v[16:17], v[16:17], off
	s_waitcnt vmcnt(0)
	v_cmp_lt_i64_e32 vcc, -1, v[16:17]
	s_and_saveexec_b64 s[10:11], vcc
	s_cbranch_execz .LBB3_28
; %bb.21:
	s_and_saveexec_b64 s[12:13], s[0:1]
	s_xor_b64 s[0:1], exec, s[12:13]
	s_cbranch_execnz .LBB3_29
; %bb.22:
	s_andn2_saveexec_b64 s[0:1], s[0:1]
	s_cbranch_execz .LBB3_28
.LBB3_23:
	s_ashr_i32 s20, s16, 31
	v_or_b32_e32 v19, s20, v17
	v_mov_b32_e32 v18, 0
	v_cmp_ne_u64_e32 vcc, 0, v[18:19]
                                        ; implicit-def: $vgpr20_vgpr21
	s_and_saveexec_b64 s[0:1], vcc
	s_xor_b64 s[12:13], exec, s[0:1]
	s_cbranch_execz .LBB3_25
; %bb.24:
	s_add_u32 s0, s16, s20
	s_mov_b32 s14, s20
	s_mov_b32 s15, s20
	s_addc_u32 s1, s20, s20
	s_xor_b64 s[18:19], s[0:1], s[14:15]
	v_cvt_f32_u32_e32 v19, s18
	v_cvt_f32_u32_e32 v20, s19
	s_sub_u32 s0, 0, s18
	s_subb_u32 s1, 0, s19
	v_mov_b32_e32 v23, v18
	v_fmamk_f32 v19, v20, 0x4f800000, v19
	v_rcp_f32_e32 v19, v19
	s_nop 0
	v_mul_f32_e32 v19, 0x5f7ffffc, v19
	v_mul_f32_e32 v20, 0x2f800000, v19
	v_trunc_f32_e32 v20, v20
	v_fmamk_f32 v19, v20, 0xcf800000, v19
	v_cvt_u32_f32_e32 v24, v20
	v_cvt_u32_f32_e32 v19, v19
	v_mul_lo_u32 v20, s0, v24
	v_mul_hi_u32 v22, s0, v19
	v_mul_lo_u32 v21, s1, v19
	v_add_u32_e32 v20, v22, v20
	v_mul_lo_u32 v25, s0, v19
	v_add_u32_e32 v26, v20, v21
	v_mul_hi_u32 v21, v19, v26
	v_mul_lo_u32 v20, v19, v26
	v_mul_hi_u32 v22, v19, v25
	v_lshl_add_u64 v[20:21], v[22:23], 0, v[20:21]
	v_mul_hi_u32 v23, v24, v25
	v_mul_lo_u32 v25, v24, v25
	v_add_co_u32_e32 v20, vcc, v20, v25
	v_mul_hi_u32 v22, v24, v26
	s_nop 0
	v_addc_co_u32_e32 v20, vcc, v21, v23, vcc
	v_mov_b32_e32 v21, v18
	s_nop 0
	v_addc_co_u32_e32 v23, vcc, 0, v22, vcc
	v_mul_lo_u32 v22, v24, v26
	v_lshl_add_u64 v[20:21], v[20:21], 0, v[22:23]
	v_add_co_u32_e32 v19, vcc, v19, v20
	v_mul_lo_u32 v22, s0, v19
	s_nop 0
	v_addc_co_u32_e32 v24, vcc, v24, v21, vcc
	v_mul_lo_u32 v20, s0, v24
	v_mul_hi_u32 v21, s0, v19
	v_add_u32_e32 v20, v21, v20
	v_mul_lo_u32 v21, s1, v19
	v_add_u32_e32 v25, v20, v21
	v_mul_hi_u32 v27, v24, v22
	v_mul_lo_u32 v28, v24, v22
	v_mul_hi_u32 v21, v19, v25
	v_mul_lo_u32 v20, v19, v25
	v_mul_hi_u32 v22, v19, v22
	v_mov_b32_e32 v23, v18
	v_lshl_add_u64 v[20:21], v[22:23], 0, v[20:21]
	v_add_co_u32_e32 v20, vcc, v20, v28
	v_mul_hi_u32 v26, v24, v25
	s_nop 0
	v_addc_co_u32_e32 v20, vcc, v21, v27, vcc
	v_mul_lo_u32 v22, v24, v25
	s_nop 0
	v_addc_co_u32_e32 v23, vcc, 0, v26, vcc
	v_mov_b32_e32 v21, v18
	v_lshl_add_u64 v[20:21], v[20:21], 0, v[22:23]
	v_add_co_u32_e32 v19, vcc, v19, v20
	v_ashrrev_i32_e32 v20, 31, v17
	s_nop 0
	v_addc_co_u32_e32 v26, vcc, v24, v21, vcc
	v_mov_b32_e32 v21, v20
	v_lshl_add_u64 v[22:23], v[16:17], 0, v[20:21]
	v_xor_b32_e32 v28, v22, v20
	v_xor_b32_e32 v21, v23, v20
	v_mad_u64_u32 v[22:23], s[0:1], v28, v26, 0
	v_mul_hi_u32 v24, v28, v19
	v_mov_b32_e32 v25, v18
	v_lshl_add_u64 v[22:23], v[24:25], 0, v[22:23]
	v_mad_u64_u32 v[24:25], s[0:1], v21, v26, 0
	v_mad_u64_u32 v[26:27], s[0:1], v21, v19, 0
	v_add_co_u32_e32 v19, vcc, v22, v26
	s_nop 1
	v_addc_co_u32_e32 v22, vcc, v23, v27, vcc
	v_mov_b32_e32 v23, v18
	s_nop 0
	v_addc_co_u32_e32 v25, vcc, 0, v25, vcc
	v_lshl_add_u64 v[18:19], v[22:23], 0, v[24:25]
	v_mul_lo_u32 v24, s19, v18
	v_mul_lo_u32 v25, s18, v19
	v_mad_u64_u32 v[22:23], s[0:1], s18, v18, 0
	v_add3_u32 v26, v23, v25, v24
	v_sub_u32_e32 v23, v21, v26
	v_mov_b32_e32 v24, s19
	v_sub_co_u32_e32 v27, vcc, v28, v22
	s_nop 1
	v_subb_co_u32_e64 v22, s[0:1], v23, v24, vcc
	v_subrev_co_u32_e64 v23, s[0:1], s18, v27
	v_subb_co_u32_e32 v21, vcc, v21, v26, vcc
	s_nop 0
	v_subbrev_co_u32_e64 v22, s[0:1], 0, v22, s[0:1]
	v_cmp_le_u32_e64 s[0:1], s19, v22
	v_cmp_le_u32_e32 vcc, s19, v21
	s_nop 0
	v_cndmask_b32_e64 v24, 0, -1, s[0:1]
	v_cmp_le_u32_e64 s[0:1], s18, v23
	s_nop 1
	v_cndmask_b32_e64 v23, 0, -1, s[0:1]
	v_cmp_eq_u32_e64 s[0:1], s19, v22
	s_nop 1
	v_cndmask_b32_e64 v28, v24, v23, s[0:1]
	v_lshl_add_u64 v[22:23], v[18:19], 0, 2
	v_lshl_add_u64 v[24:25], v[18:19], 0, 1
	v_cmp_ne_u32_e64 s[0:1], 0, v28
	s_nop 1
	v_cndmask_b32_e64 v23, v25, v23, s[0:1]
	v_cndmask_b32_e64 v25, 0, -1, vcc
	v_cmp_le_u32_e32 vcc, s18, v27
	s_nop 1
	v_cndmask_b32_e64 v26, 0, -1, vcc
	v_cmp_eq_u32_e32 vcc, s19, v21
	s_nop 1
	v_cndmask_b32_e32 v21, v25, v26, vcc
	v_cmp_ne_u32_e32 vcc, 0, v21
	v_cndmask_b32_e64 v21, v24, v22, s[0:1]
	s_nop 0
	v_cndmask_b32_e32 v18, v18, v21, vcc
	v_xor_b32_e32 v21, s15, v20
	v_xor_b32_e32 v20, s14, v20
	v_cndmask_b32_e32 v19, v19, v23, vcc
	v_xor_b32_e32 v18, v18, v20
	v_xor_b32_e32 v19, v19, v21
	v_sub_co_u32_e32 v20, vcc, v18, v20
	s_nop 1
	v_subb_co_u32_e32 v21, vcc, v19, v21, vcc
.LBB3_25:
	s_andn2_saveexec_b64 s[0:1], s[12:13]
	s_cbranch_execz .LBB3_27
; %bb.26:
	v_cvt_f32_u32_e32 v18, s16
	s_sub_i32 s12, 0, s16
	v_rcp_iflag_f32_e32 v18, v18
	s_nop 0
	v_mul_f32_e32 v18, 0x4f7ffffe, v18
	v_cvt_u32_f32_e32 v18, v18
	v_mul_lo_u32 v19, s12, v18
	v_mul_hi_u32 v19, v18, v19
	v_add_u32_e32 v18, v18, v19
	v_mul_hi_u32 v18, v16, v18
	v_mul_lo_u32 v19, v18, s16
	v_sub_u32_e32 v19, v16, v19
	v_add_u32_e32 v20, 1, v18
	v_subrev_u32_e32 v21, s16, v19
	v_cmp_le_u32_e32 vcc, s16, v19
	s_nop 1
	v_cndmask_b32_e32 v19, v19, v21, vcc
	v_cndmask_b32_e32 v18, v18, v20, vcc
	v_add_u32_e32 v20, 1, v18
	v_cmp_le_u32_e32 vcc, s16, v19
	v_mov_b32_e32 v21, 0
	s_nop 0
	v_cndmask_b32_e32 v20, v18, v20, vcc
.LBB3_27:
	s_or_b64 exec, exec, s[0:1]
	s_ashr_i32 s12, s17, 31
	v_mov_b64_e32 v[18:19], s[8:9]
	v_mad_u64_u32 v[18:19], s[0:1], v20, s17, v[18:19]
	v_mul_lo_u32 v22, v21, s17
	v_mul_lo_u32 v23, v20, s12
	v_add3_u32 v19, v22, v19, v23
	v_mul_lo_u32 v22, v21, s16
	v_mul_lo_u32 v23, v20, s20
	v_mad_u64_u32 v[20:21], s[0:1], v20, s16, 0
	v_add3_u32 v21, v21, v23, v22
	v_sub_co_u32_e32 v16, vcc, v16, v20
	s_movk_i32 s8, 0x240
	s_nop 0
	v_subb_co_u32_e32 v20, vcc, v17, v21, vcc
	v_mad_u64_u32 v[16:17], s[0:1], v16, s8, v[18:19]
	v_mov_b32_e32 v18, v17
	v_mad_u64_u32 v[18:19], s[0:1], v20, s8, v[18:19]
	v_mov_b32_e32 v17, v18
	v_cvt_f16_f32_e32 v18, v0
	v_cvt_f16_f32_e32 v19, v1
	;; [unrolled: 1-line block ×16, first 2 shown]
	v_lshlrev_b32_e32 v0, 1, v36
	v_mov_b32_e32 v1, 0
	v_lshl_add_u64 v[4:5], v[16:17], 0, v[0:1]
	v_pack_b32_f16 v3, v3, v6
	v_pack_b32_f16 v2, v2, v22
	;; [unrolled: 1-line block ×4, first 2 shown]
	global_store_dwordx4 v[4:5], v[0:3], off offset:-448
	s_nop 1
	v_pack_b32_f16 v3, v13, v15
	v_pack_b32_f16 v2, v11, v12
	;; [unrolled: 1-line block ×4, first 2 shown]
	global_store_dwordx4 v[4:5], v[0:3], off offset:-432
.LBB3_28:
	s_or_b64 exec, exec, s[10:11]
                                        ; implicit-def: $vgpr0_vgpr1_vgpr2_vgpr3_vgpr4_vgpr5_vgpr6_vgpr7_vgpr8_vgpr9_vgpr10_vgpr11_vgpr12_vgpr13_vgpr14_vgpr15
                                        ; implicit-def: $vgpr32
                                        ; implicit-def: $vgpr34
                                        ; implicit-def: $vgpr36
	s_andn2_saveexec_b64 s[0:1], s[2:3]
	s_cbranch_execnz .LBB3_14
	s_branch .LBB3_15
.LBB3_29:
	s_trap 2
	; divergent unreachable
                                        ; implicit-def: $vgpr16_vgpr17
                                        ; implicit-def: $vgpr0_vgpr1_vgpr2_vgpr3_vgpr4_vgpr5_vgpr6_vgpr7_vgpr8_vgpr9_vgpr10_vgpr11_vgpr12_vgpr13_vgpr14_vgpr15
                                        ; implicit-def: $vgpr36
	s_andn2_saveexec_b64 s[0:1], s[0:1]
	s_cbranch_execnz .LBB3_23
	s_branch .LBB3_28
	.section	.rodata,"a",@progbits
	.p2align	6, 0x0
	.amdhsa_kernel _ZN4vllm21deepseek_v4_fused_ops47fusedDeepseekV4QNormRopeKVRopeQuantInsertKernelIN3c104HalfELi64EEEvPKT_PS4_S6_PhPKlSA_PKffiiiii
		.amdhsa_group_segment_fixed_size 0
		.amdhsa_private_segment_fixed_size 0
		.amdhsa_kernarg_size 336
		.amdhsa_user_sgpr_count 2
		.amdhsa_user_sgpr_dispatch_ptr 0
		.amdhsa_user_sgpr_queue_ptr 0
		.amdhsa_user_sgpr_kernarg_segment_ptr 1
		.amdhsa_user_sgpr_dispatch_id 0
		.amdhsa_user_sgpr_kernarg_preload_length 0
		.amdhsa_user_sgpr_kernarg_preload_offset 0
		.amdhsa_user_sgpr_private_segment_size 0
		.amdhsa_uses_dynamic_stack 0
		.amdhsa_enable_private_segment 0
		.amdhsa_system_sgpr_workgroup_id_x 1
		.amdhsa_system_sgpr_workgroup_id_y 0
		.amdhsa_system_sgpr_workgroup_id_z 0
		.amdhsa_system_sgpr_workgroup_info 0
		.amdhsa_system_vgpr_workitem_id 0
		.amdhsa_next_free_vgpr 46
		.amdhsa_next_free_sgpr 24
		.amdhsa_accum_offset 48
		.amdhsa_reserve_vcc 1
		.amdhsa_float_round_mode_32 0
		.amdhsa_float_round_mode_16_64 0
		.amdhsa_float_denorm_mode_32 3
		.amdhsa_float_denorm_mode_16_64 3
		.amdhsa_dx10_clamp 1
		.amdhsa_ieee_mode 1
		.amdhsa_fp16_overflow 0
		.amdhsa_tg_split 0
		.amdhsa_exception_fp_ieee_invalid_op 0
		.amdhsa_exception_fp_denorm_src 0
		.amdhsa_exception_fp_ieee_div_zero 0
		.amdhsa_exception_fp_ieee_overflow 0
		.amdhsa_exception_fp_ieee_underflow 0
		.amdhsa_exception_fp_ieee_inexact 0
		.amdhsa_exception_int_div_zero 0
	.end_amdhsa_kernel
	.section	.text._ZN4vllm21deepseek_v4_fused_ops47fusedDeepseekV4QNormRopeKVRopeQuantInsertKernelIN3c104HalfELi64EEEvPKT_PS4_S6_PhPKlSA_PKffiiiii,"axG",@progbits,_ZN4vllm21deepseek_v4_fused_ops47fusedDeepseekV4QNormRopeKVRopeQuantInsertKernelIN3c104HalfELi64EEEvPKT_PS4_S6_PhPKlSA_PKffiiiii,comdat
.Lfunc_end3:
	.size	_ZN4vllm21deepseek_v4_fused_ops47fusedDeepseekV4QNormRopeKVRopeQuantInsertKernelIN3c104HalfELi64EEEvPKT_PS4_S6_PhPKlSA_PKffiiiii, .Lfunc_end3-_ZN4vllm21deepseek_v4_fused_ops47fusedDeepseekV4QNormRopeKVRopeQuantInsertKernelIN3c104HalfELi64EEEvPKT_PS4_S6_PhPKlSA_PKffiiiii
                                        ; -- End function
	.section	.AMDGPU.csdata,"",@progbits
; Kernel info:
; codeLenInByte = 2936
; NumSgprs: 30
; NumVgprs: 46
; NumAgprs: 0
; TotalNumVgprs: 46
; ScratchSize: 0
; MemoryBound: 1
; FloatMode: 240
; IeeeMode: 1
; LDSByteSize: 0 bytes/workgroup (compile time only)
; SGPRBlocks: 3
; VGPRBlocks: 5
; NumSGPRsForWavesPerEU: 30
; NumVGPRsForWavesPerEU: 46
; AccumOffset: 48
; Occupancy: 8
; WaveLimiterHint : 1
; COMPUTE_PGM_RSRC2:SCRATCH_EN: 0
; COMPUTE_PGM_RSRC2:USER_SGPR: 2
; COMPUTE_PGM_RSRC2:TRAP_HANDLER: 0
; COMPUTE_PGM_RSRC2:TGID_X_EN: 1
; COMPUTE_PGM_RSRC2:TGID_Y_EN: 0
; COMPUTE_PGM_RSRC2:TGID_Z_EN: 0
; COMPUTE_PGM_RSRC2:TIDIG_COMP_CNT: 0
; COMPUTE_PGM_RSRC3_GFX90A:ACCUM_OFFSET: 11
; COMPUTE_PGM_RSRC3_GFX90A:TG_SPLIT: 0
	.section	.text._ZN4vllm21deepseek_v4_fused_ops47fusedDeepseekV4QNormRopeKVRopeQuantInsertKernelIN3c104HalfELi128EEEvPKT_PS4_S6_PhPKlSA_PKffiiiii,"axG",@progbits,_ZN4vllm21deepseek_v4_fused_ops47fusedDeepseekV4QNormRopeKVRopeQuantInsertKernelIN3c104HalfELi128EEEvPKT_PS4_S6_PhPKlSA_PKffiiiii,comdat
	.protected	_ZN4vllm21deepseek_v4_fused_ops47fusedDeepseekV4QNormRopeKVRopeQuantInsertKernelIN3c104HalfELi128EEEvPKT_PS4_S6_PhPKlSA_PKffiiiii ; -- Begin function _ZN4vllm21deepseek_v4_fused_ops47fusedDeepseekV4QNormRopeKVRopeQuantInsertKernelIN3c104HalfELi128EEEvPKT_PS4_S6_PhPKlSA_PKffiiiii
	.globl	_ZN4vllm21deepseek_v4_fused_ops47fusedDeepseekV4QNormRopeKVRopeQuantInsertKernelIN3c104HalfELi128EEEvPKT_PS4_S6_PhPKlSA_PKffiiiii
	.p2align	8
	.type	_ZN4vllm21deepseek_v4_fused_ops47fusedDeepseekV4QNormRopeKVRopeQuantInsertKernelIN3c104HalfELi128EEEvPKT_PS4_S6_PhPKlSA_PKffiiiii,@function
_ZN4vllm21deepseek_v4_fused_ops47fusedDeepseekV4QNormRopeKVRopeQuantInsertKernelIN3c104HalfELi128EEEvPKT_PS4_S6_PhPKlSA_PKffiiiii: ; @_ZN4vllm21deepseek_v4_fused_ops47fusedDeepseekV4QNormRopeKVRopeQuantInsertKernelIN3c104HalfELi128EEEvPKT_PS4_S6_PhPKlSA_PKffiiiii
; %bb.0:
	s_load_dword s3, s[0:1], 0x5c
	s_load_dwordx4 s[12:15], s[0:1], 0x38
	v_lshrrev_b32_e32 v1, 5, v0
	s_waitcnt lgkmcnt(0)
	s_bfe_u32 s3, s3, 0xb0005
	s_mul_i32 s2, s2, s3
	v_add_u32_e32 v1, s2, v1
	s_mov_b32 s2, 0xfe03f81
	v_mul_hi_i32 v2, v1, s2
	v_lshrrev_b32_e32 v3, 31, v2
	v_ashrrev_i32_e32 v2, 3, v2
	v_add_u32_e32 v32, v2, v3
	v_cmp_gt_i32_e32 vcc, s13, v32
	s_and_saveexec_b64 s[2:3], vcc
	s_cbranch_execz .LBB4_18
; %bb.1:
	s_load_dwordx2 s[16:17], s[0:1], 0x48
	v_lshl_add_u32 v2, v32, 7, v32
	v_sub_u32_e32 v34, v1, v2
	s_movk_i32 s2, 0x80
	v_cmp_eq_u32_e32 vcc, s2, v34
	v_cmp_ne_u32_e64 s[2:3], s2, v34
	v_cmp_gt_i32_e64 s[4:5], s14, v32
	s_or_b64 s[4:5], s[2:3], s[4:5]
	s_and_b64 exec, exec, s[4:5]
	s_cbranch_execz .LBB4_18
; %bb.2:
	s_load_dwordx4 s[8:11], s[0:1], 0x18
	s_load_dwordx2 s[18:19], s[0:1], 0x28
	v_cmp_gt_i32_e64 s[4:5], s15, v34
	s_xor_b64 s[6:7], s[2:3], -1
	v_lshlrev_b32_e32 v0, 4, v0
	s_or_b64 s[6:7], s[6:7], s[4:5]
	v_and_b32_e32 v36, 0x1f0, v0
	v_ashrrev_i32_e32 v33, 31, v32
                                        ; implicit-def: $vgpr9
                                        ; implicit-def: $vgpr17
	s_and_saveexec_b64 s[4:5], s[6:7]
	s_cbranch_execz .LBB4_8
; %bb.3:
                                        ; implicit-def: $vgpr0_vgpr1
	s_and_saveexec_b64 s[20:21], vcc
	s_xor_b64 s[20:21], exec, s[20:21]
	s_cbranch_execz .LBB4_5
; %bb.4:
	s_load_dwordx2 s[22:23], s[0:1], 0x10
	v_lshlrev_b64 v[0:1], 10, v[32:33]
	v_lshlrev_b32_e32 v2, 1, v36
	v_mov_b32_e32 v3, 0
	s_waitcnt lgkmcnt(0)
	v_lshl_add_u64 v[0:1], s[22:23], 0, v[0:1]
	v_lshl_add_u64 v[0:1], v[0:1], 0, v[2:3]
.LBB4_5:
	s_andn2_saveexec_b64 s[20:21], s[20:21]
	s_cbranch_execz .LBB4_7
; %bb.6:
	s_load_dwordx2 s[22:23], s[0:1], 0x0
	v_ashrrev_i32_e32 v35, 31, v34
	v_mad_i64_i32 v[0:1], s[14:15], v32, s15, v[34:35]
	v_lshlrev_b64 v[0:1], 10, v[0:1]
	v_lshl_or_b32 v0, v36, 1, v0
	s_waitcnt lgkmcnt(0)
	v_lshl_add_u64 v[0:1], s[22:23], 0, v[0:1]
.LBB4_7:
	s_or_b64 exec, exec, s[20:21]
	global_load_dwordx4 v[14:17], v[0:1], off offset:16
	global_load_dwordx4 v[6:9], v[0:1], off
.LBB4_8:
	s_or_b64 exec, exec, s[4:5]
	s_load_dwordx2 s[4:5], s[0:1], 0x8
	s_load_dwordx2 s[14:15], s[0:1], 0x30
	s_and_saveexec_b64 s[0:1], s[6:7]
	s_xor_b64 s[6:7], exec, s[0:1]
	s_cbranch_execz .LBB4_16
; %bb.9:
	s_waitcnt vmcnt(0)
	v_cvt_f32_f16_sdwa v1, v6 dst_sel:DWORD dst_unused:UNUSED_PAD src0_sel:WORD_1
	v_cvt_f32_f16_e32 v0, v6
	v_cvt_f32_f16_sdwa v3, v7 dst_sel:DWORD dst_unused:UNUSED_PAD src0_sel:WORD_1
	v_cvt_f32_f16_e32 v2, v7
	;; [unrolled: 2-line block ×8, first 2 shown]
	s_and_saveexec_b64 s[20:21], s[2:3]
	s_cbranch_execz .LBB4_11
; %bb.10:
	v_pk_mul_f32 v[16:17], v[0:1], v[0:1]
	v_pk_mul_f32 v[18:19], v[2:3], v[2:3]
	v_add_f32_e32 v16, v16, v17
	v_add_f32_e32 v16, v18, v16
	v_pk_mul_f32 v[20:21], v[4:5], v[4:5]
	v_add_f32_e32 v16, v19, v16
	v_add_f32_e32 v16, v20, v16
	;; [unrolled: 3-line block ×4, first 2 shown]
	v_pk_mul_f32 v[26:27], v[10:11], v[10:11]
	v_add_f32_e32 v16, v25, v16
	v_mbcnt_lo_u32_b32 v17, -1, 0
	v_add_f32_e32 v16, v26, v16
	v_mbcnt_hi_u32_b32 v17, -1, v17
	v_pk_mul_f32 v[28:29], v[12:13], v[12:13]
	v_add_f32_e32 v16, v27, v16
	v_and_b32_e32 v18, 0x60, v17
	v_add_f32_e32 v16, v28, v16
	v_add_u32_e32 v18, 32, v18
	v_xor_b32_e32 v19, 16, v17
	v_pk_mul_f32 v[30:31], v[14:15], v[14:15]
	v_add_f32_e32 v16, v29, v16
	v_cmp_lt_i32_e64 s[0:1], v19, v18
	v_add_f32_e32 v16, v30, v16
	v_add_f32_e32 v16, v31, v16
	v_cndmask_b32_e64 v19, v17, v19, s[0:1]
	v_lshlrev_b32_e32 v19, 2, v19
	ds_bpermute_b32 v19, v19, v16
	s_waitcnt lgkmcnt(0)
	v_add_f32_e32 v16, v16, v19
	v_xor_b32_e32 v19, 8, v17
	v_cmp_lt_i32_e64 s[0:1], v19, v18
	s_nop 1
	v_cndmask_b32_e64 v19, v17, v19, s[0:1]
	v_lshlrev_b32_e32 v19, 2, v19
	ds_bpermute_b32 v19, v19, v16
	s_waitcnt lgkmcnt(0)
	v_add_f32_e32 v16, v16, v19
	v_xor_b32_e32 v19, 4, v17
	v_cmp_lt_i32_e64 s[0:1], v19, v18
	s_nop 1
	;; [unrolled: 8-line block ×4, first 2 shown]
	v_cndmask_b32_e64 v17, v17, v19, s[0:1]
	v_lshlrev_b32_e32 v17, 2, v17
	ds_bpermute_b32 v17, v17, v16
	s_mov_b32 s0, 0x800000
	s_waitcnt lgkmcnt(0)
	v_add_f32_e32 v16, v16, v17
	v_mov_b32_e32 v17, s12
	v_fmamk_f32 v16, v16, 0x3b000000, v17
	v_mul_f32_e32 v17, 0x4b800000, v16
	v_cmp_gt_f32_e64 s[0:1], s0, v16
	s_nop 1
	v_cndmask_b32_e64 v16, v16, v17, s[0:1]
	v_rsq_f32_e32 v16, v16
	s_nop 0
	v_mul_f32_e32 v17, 0x45800000, v16
	v_cndmask_b32_e64 v16, v16, v17, s[0:1]
	v_pk_mul_f32 v[14:15], v[16:17], v[14:15] op_sel_hi:[0,1]
	v_pk_mul_f32 v[12:13], v[16:17], v[12:13] op_sel_hi:[0,1]
	;; [unrolled: 1-line block ×8, first 2 shown]
.LBB4_11:
	s_or_b64 exec, exec, s[20:21]
	s_movk_i32 s0, 0x1c0
	s_movk_i32 s2, 0x1bf
	v_cmp_gt_u32_e64 s[0:1], s0, v36
	v_cmp_lt_u32_e64 s[2:3], s2, v36
	s_and_saveexec_b64 s[12:13], s[2:3]
	s_cbranch_execnz .LBB4_19
; %bb.12:
	s_or_b64 exec, exec, s[12:13]
	s_and_saveexec_b64 s[2:3], vcc
	s_xor_b64 s[2:3], exec, s[2:3]
	s_cbranch_execnz .LBB4_20
.LBB4_13:
	s_andn2_saveexec_b64 s[0:1], s[2:3]
	s_cbranch_execz .LBB4_15
.LBB4_14:
	v_cvt_f16_f32_e32 v16, v0
	v_cvt_f16_f32_e32 v17, v1
	;; [unrolled: 1-line block ×16, first 2 shown]
	v_ashrrev_i32_e32 v35, 31, v34
	v_lshlrev_b64 v[0:1], 17, v[32:33]
	s_waitcnt lgkmcnt(0)
	v_lshl_add_u64 v[0:1], s[4:5], 0, v[0:1]
	v_lshlrev_b64 v[2:3], 10, v[34:35]
	v_lshl_add_u64 v[0:1], v[0:1], 0, v[2:3]
	v_lshlrev_b32_e32 v2, 1, v36
	v_mov_b32_e32 v3, 0
	v_lshl_add_u64 v[4:5], v[0:1], 0, v[2:3]
	v_pack_b32_f16 v3, v6, v7
	v_pack_b32_f16 v2, v20, v21
	v_pack_b32_f16 v1, v18, v19
	v_pack_b32_f16 v0, v16, v17
	global_store_dwordx4 v[4:5], v[0:3], off
	s_nop 1
	v_pack_b32_f16 v3, v14, v15
	v_pack_b32_f16 v2, v12, v13
	;; [unrolled: 1-line block ×4, first 2 shown]
	global_store_dwordx4 v[4:5], v[0:3], off offset:16
.LBB4_15:
	s_or_b64 exec, exec, s[0:1]
                                        ; implicit-def: $vgpr32
                                        ; implicit-def: $vgpr34
                                        ; implicit-def: $vgpr36
.LBB4_16:
	s_andn2_saveexec_b64 s[0:1], s[6:7]
	s_cbranch_execz .LBB4_18
; %bb.17:
	v_ashrrev_i32_e32 v35, 31, v34
	v_lshlrev_b64 v[0:1], 17, v[32:33]
	s_waitcnt lgkmcnt(0)
	v_lshl_add_u64 v[0:1], s[4:5], 0, v[0:1]
	v_lshlrev_b64 v[2:3], 10, v[34:35]
	s_mov_b32 s0, 0
	v_lshl_add_u64 v[0:1], v[0:1], 0, v[2:3]
	v_lshlrev_b32_e32 v2, 1, v36
	v_mov_b32_e32 v3, 0
	s_mov_b32 s1, s0
	v_lshl_add_u64 v[4:5], v[0:1], 0, v[2:3]
	s_mov_b32 s2, s0
	s_mov_b32 s3, s0
	v_mov_b64_e32 v[0:1], s[0:1]
	v_mov_b64_e32 v[2:3], s[2:3]
	global_store_dwordx4 v[4:5], v[0:3], off
	global_store_dwordx4 v[4:5], v[0:3], off offset:16
.LBB4_18:
	s_endpgm
.LBB4_19:
	s_waitcnt lgkmcnt(0)
	v_lshl_add_u64 v[16:17], v[32:33], 3, s[18:19]
	global_load_dwordx2 v[16:17], v[16:17], off
	v_add_u32_e32 v18, 0xfffffe40, v36
	v_mov_b32_e32 v19, 0
	v_lshrrev_b32_e32 v18, 1, v18
	s_waitcnt vmcnt(0)
	v_lshlrev_b64 v[16:17], 8, v[16:17]
	v_lshl_add_u64 v[16:17], s[14:15], 0, v[16:17]
	v_lshl_add_u64 v[16:17], v[18:19], 2, v[16:17]
	global_load_dwordx4 v[20:23], v[16:17], off offset:128
	global_load_dwordx4 v[28:31], v[16:17], off offset:144
	global_load_dwordx4 v[38:41], v[16:17], off
	global_load_dwordx4 v[42:45], v[16:17], off offset:16
	s_waitcnt vmcnt(3)
	v_mul_f32_e32 v16, v1, v20
	v_mul_f32_e32 v17, v0, v20
	;; [unrolled: 1-line block ×8, first 2 shown]
	s_waitcnt vmcnt(2)
	v_mul_f32_e32 v24, v9, v28
	v_mul_f32_e32 v25, v8, v28
	;; [unrolled: 1-line block ×8, first 2 shown]
	s_waitcnt vmcnt(1)
	v_fma_f32 v16, v0, v38, -v16
	v_fmac_f32_e32 v17, v1, v38
	v_fma_f32 v18, v2, v39, -v18
	v_fmac_f32_e32 v19, v3, v39
	;; [unrolled: 2-line block ×4, first 2 shown]
	s_waitcnt vmcnt(0)
	v_fma_f32 v24, v8, v42, -v24
	v_fmac_f32_e32 v25, v9, v42
	v_fma_f32 v26, v10, v43, -v26
	v_fmac_f32_e32 v27, v11, v43
	;; [unrolled: 2-line block ×4, first 2 shown]
	v_mov_b64_e32 v[0:1], v[16:17]
	v_mov_b64_e32 v[2:3], v[18:19]
	;; [unrolled: 1-line block ×8, first 2 shown]
	s_or_b64 exec, exec, s[12:13]
	s_and_saveexec_b64 s[2:3], vcc
	s_xor_b64 s[2:3], exec, s[2:3]
	s_cbranch_execz .LBB4_13
.LBB4_20:
	s_waitcnt lgkmcnt(0)
	v_lshl_add_u64 v[16:17], v[32:33], 3, s[10:11]
	global_load_dwordx2 v[16:17], v[16:17], off
	s_waitcnt vmcnt(0)
	v_cmp_lt_i64_e32 vcc, -1, v[16:17]
	s_and_saveexec_b64 s[10:11], vcc
	s_cbranch_execz .LBB4_28
; %bb.21:
	s_and_saveexec_b64 s[12:13], s[0:1]
	s_xor_b64 s[0:1], exec, s[12:13]
	s_cbranch_execnz .LBB4_29
; %bb.22:
	s_andn2_saveexec_b64 s[0:1], s[0:1]
	s_cbranch_execz .LBB4_28
.LBB4_23:
	s_ashr_i32 s20, s16, 31
	v_or_b32_e32 v19, s20, v17
	v_mov_b32_e32 v18, 0
	v_cmp_ne_u64_e32 vcc, 0, v[18:19]
                                        ; implicit-def: $vgpr20_vgpr21
	s_and_saveexec_b64 s[0:1], vcc
	s_xor_b64 s[12:13], exec, s[0:1]
	s_cbranch_execz .LBB4_25
; %bb.24:
	s_add_u32 s0, s16, s20
	s_mov_b32 s14, s20
	s_mov_b32 s15, s20
	s_addc_u32 s1, s20, s20
	s_xor_b64 s[18:19], s[0:1], s[14:15]
	v_cvt_f32_u32_e32 v19, s18
	v_cvt_f32_u32_e32 v20, s19
	s_sub_u32 s0, 0, s18
	s_subb_u32 s1, 0, s19
	v_mov_b32_e32 v23, v18
	v_fmamk_f32 v19, v20, 0x4f800000, v19
	v_rcp_f32_e32 v19, v19
	s_nop 0
	v_mul_f32_e32 v19, 0x5f7ffffc, v19
	v_mul_f32_e32 v20, 0x2f800000, v19
	v_trunc_f32_e32 v20, v20
	v_fmamk_f32 v19, v20, 0xcf800000, v19
	v_cvt_u32_f32_e32 v24, v20
	v_cvt_u32_f32_e32 v19, v19
	v_mul_lo_u32 v20, s0, v24
	v_mul_hi_u32 v22, s0, v19
	v_mul_lo_u32 v21, s1, v19
	v_add_u32_e32 v20, v22, v20
	v_mul_lo_u32 v25, s0, v19
	v_add_u32_e32 v26, v20, v21
	v_mul_hi_u32 v21, v19, v26
	v_mul_lo_u32 v20, v19, v26
	v_mul_hi_u32 v22, v19, v25
	v_lshl_add_u64 v[20:21], v[22:23], 0, v[20:21]
	v_mul_hi_u32 v23, v24, v25
	v_mul_lo_u32 v25, v24, v25
	v_add_co_u32_e32 v20, vcc, v20, v25
	v_mul_hi_u32 v22, v24, v26
	s_nop 0
	v_addc_co_u32_e32 v20, vcc, v21, v23, vcc
	v_mov_b32_e32 v21, v18
	s_nop 0
	v_addc_co_u32_e32 v23, vcc, 0, v22, vcc
	v_mul_lo_u32 v22, v24, v26
	v_lshl_add_u64 v[20:21], v[20:21], 0, v[22:23]
	v_add_co_u32_e32 v19, vcc, v19, v20
	v_mul_lo_u32 v22, s0, v19
	s_nop 0
	v_addc_co_u32_e32 v24, vcc, v24, v21, vcc
	v_mul_lo_u32 v20, s0, v24
	v_mul_hi_u32 v21, s0, v19
	v_add_u32_e32 v20, v21, v20
	v_mul_lo_u32 v21, s1, v19
	v_add_u32_e32 v25, v20, v21
	v_mul_hi_u32 v27, v24, v22
	v_mul_lo_u32 v28, v24, v22
	v_mul_hi_u32 v21, v19, v25
	v_mul_lo_u32 v20, v19, v25
	v_mul_hi_u32 v22, v19, v22
	v_mov_b32_e32 v23, v18
	v_lshl_add_u64 v[20:21], v[22:23], 0, v[20:21]
	v_add_co_u32_e32 v20, vcc, v20, v28
	v_mul_hi_u32 v26, v24, v25
	s_nop 0
	v_addc_co_u32_e32 v20, vcc, v21, v27, vcc
	v_mul_lo_u32 v22, v24, v25
	s_nop 0
	v_addc_co_u32_e32 v23, vcc, 0, v26, vcc
	v_mov_b32_e32 v21, v18
	v_lshl_add_u64 v[20:21], v[20:21], 0, v[22:23]
	v_add_co_u32_e32 v19, vcc, v19, v20
	v_ashrrev_i32_e32 v20, 31, v17
	s_nop 0
	v_addc_co_u32_e32 v26, vcc, v24, v21, vcc
	v_mov_b32_e32 v21, v20
	v_lshl_add_u64 v[22:23], v[16:17], 0, v[20:21]
	v_xor_b32_e32 v28, v22, v20
	v_xor_b32_e32 v21, v23, v20
	v_mad_u64_u32 v[22:23], s[0:1], v28, v26, 0
	v_mul_hi_u32 v24, v28, v19
	v_mov_b32_e32 v25, v18
	v_lshl_add_u64 v[22:23], v[24:25], 0, v[22:23]
	v_mad_u64_u32 v[24:25], s[0:1], v21, v26, 0
	v_mad_u64_u32 v[26:27], s[0:1], v21, v19, 0
	v_add_co_u32_e32 v19, vcc, v22, v26
	s_nop 1
	v_addc_co_u32_e32 v22, vcc, v23, v27, vcc
	v_mov_b32_e32 v23, v18
	s_nop 0
	v_addc_co_u32_e32 v25, vcc, 0, v25, vcc
	v_lshl_add_u64 v[18:19], v[22:23], 0, v[24:25]
	v_mul_lo_u32 v24, s19, v18
	v_mul_lo_u32 v25, s18, v19
	v_mad_u64_u32 v[22:23], s[0:1], s18, v18, 0
	v_add3_u32 v26, v23, v25, v24
	v_sub_u32_e32 v23, v21, v26
	v_mov_b32_e32 v24, s19
	v_sub_co_u32_e32 v27, vcc, v28, v22
	s_nop 1
	v_subb_co_u32_e64 v22, s[0:1], v23, v24, vcc
	v_subrev_co_u32_e64 v23, s[0:1], s18, v27
	v_subb_co_u32_e32 v21, vcc, v21, v26, vcc
	s_nop 0
	v_subbrev_co_u32_e64 v22, s[0:1], 0, v22, s[0:1]
	v_cmp_le_u32_e64 s[0:1], s19, v22
	v_cmp_le_u32_e32 vcc, s19, v21
	s_nop 0
	v_cndmask_b32_e64 v24, 0, -1, s[0:1]
	v_cmp_le_u32_e64 s[0:1], s18, v23
	s_nop 1
	v_cndmask_b32_e64 v23, 0, -1, s[0:1]
	v_cmp_eq_u32_e64 s[0:1], s19, v22
	s_nop 1
	v_cndmask_b32_e64 v28, v24, v23, s[0:1]
	v_lshl_add_u64 v[22:23], v[18:19], 0, 2
	v_lshl_add_u64 v[24:25], v[18:19], 0, 1
	v_cmp_ne_u32_e64 s[0:1], 0, v28
	s_nop 1
	v_cndmask_b32_e64 v23, v25, v23, s[0:1]
	v_cndmask_b32_e64 v25, 0, -1, vcc
	v_cmp_le_u32_e32 vcc, s18, v27
	s_nop 1
	v_cndmask_b32_e64 v26, 0, -1, vcc
	v_cmp_eq_u32_e32 vcc, s19, v21
	s_nop 1
	v_cndmask_b32_e32 v21, v25, v26, vcc
	v_cmp_ne_u32_e32 vcc, 0, v21
	v_cndmask_b32_e64 v21, v24, v22, s[0:1]
	s_nop 0
	v_cndmask_b32_e32 v18, v18, v21, vcc
	v_xor_b32_e32 v21, s15, v20
	v_xor_b32_e32 v20, s14, v20
	v_cndmask_b32_e32 v19, v19, v23, vcc
	v_xor_b32_e32 v18, v18, v20
	v_xor_b32_e32 v19, v19, v21
	v_sub_co_u32_e32 v20, vcc, v18, v20
	s_nop 1
	v_subb_co_u32_e32 v21, vcc, v19, v21, vcc
.LBB4_25:
	s_andn2_saveexec_b64 s[0:1], s[12:13]
	s_cbranch_execz .LBB4_27
; %bb.26:
	v_cvt_f32_u32_e32 v18, s16
	s_sub_i32 s12, 0, s16
	v_rcp_iflag_f32_e32 v18, v18
	s_nop 0
	v_mul_f32_e32 v18, 0x4f7ffffe, v18
	v_cvt_u32_f32_e32 v18, v18
	v_mul_lo_u32 v19, s12, v18
	v_mul_hi_u32 v19, v18, v19
	v_add_u32_e32 v18, v18, v19
	v_mul_hi_u32 v18, v16, v18
	v_mul_lo_u32 v19, v18, s16
	v_sub_u32_e32 v19, v16, v19
	v_add_u32_e32 v20, 1, v18
	v_subrev_u32_e32 v21, s16, v19
	v_cmp_le_u32_e32 vcc, s16, v19
	s_nop 1
	v_cndmask_b32_e32 v19, v19, v21, vcc
	v_cndmask_b32_e32 v18, v18, v20, vcc
	v_add_u32_e32 v20, 1, v18
	v_cmp_le_u32_e32 vcc, s16, v19
	v_mov_b32_e32 v21, 0
	s_nop 0
	v_cndmask_b32_e32 v20, v18, v20, vcc
.LBB4_27:
	s_or_b64 exec, exec, s[0:1]
	s_ashr_i32 s12, s17, 31
	v_mov_b64_e32 v[18:19], s[8:9]
	v_mad_u64_u32 v[18:19], s[0:1], v20, s17, v[18:19]
	v_mul_lo_u32 v22, v21, s17
	v_mul_lo_u32 v23, v20, s12
	v_add3_u32 v19, v22, v19, v23
	v_mul_lo_u32 v22, v21, s16
	v_mul_lo_u32 v23, v20, s20
	v_mad_u64_u32 v[20:21], s[0:1], v20, s16, 0
	v_add3_u32 v21, v21, v23, v22
	v_sub_co_u32_e32 v16, vcc, v16, v20
	s_movk_i32 s8, 0x240
	s_nop 0
	v_subb_co_u32_e32 v20, vcc, v17, v21, vcc
	v_mad_u64_u32 v[16:17], s[0:1], v16, s8, v[18:19]
	v_mov_b32_e32 v18, v17
	v_mad_u64_u32 v[18:19], s[0:1], v20, s8, v[18:19]
	v_mov_b32_e32 v17, v18
	v_cvt_f16_f32_e32 v18, v0
	v_cvt_f16_f32_e32 v19, v1
	;; [unrolled: 1-line block ×16, first 2 shown]
	v_lshlrev_b32_e32 v0, 1, v36
	v_mov_b32_e32 v1, 0
	v_lshl_add_u64 v[4:5], v[16:17], 0, v[0:1]
	v_pack_b32_f16 v3, v3, v6
	v_pack_b32_f16 v2, v2, v22
	;; [unrolled: 1-line block ×4, first 2 shown]
	global_store_dwordx4 v[4:5], v[0:3], off offset:-448
	s_nop 1
	v_pack_b32_f16 v3, v13, v15
	v_pack_b32_f16 v2, v11, v12
	;; [unrolled: 1-line block ×4, first 2 shown]
	global_store_dwordx4 v[4:5], v[0:3], off offset:-432
.LBB4_28:
	s_or_b64 exec, exec, s[10:11]
                                        ; implicit-def: $vgpr0_vgpr1_vgpr2_vgpr3_vgpr4_vgpr5_vgpr6_vgpr7_vgpr8_vgpr9_vgpr10_vgpr11_vgpr12_vgpr13_vgpr14_vgpr15
                                        ; implicit-def: $vgpr32
                                        ; implicit-def: $vgpr34
                                        ; implicit-def: $vgpr36
	s_andn2_saveexec_b64 s[0:1], s[2:3]
	s_cbranch_execnz .LBB4_14
	s_branch .LBB4_15
.LBB4_29:
	s_trap 2
	; divergent unreachable
                                        ; implicit-def: $vgpr16_vgpr17
                                        ; implicit-def: $vgpr0_vgpr1_vgpr2_vgpr3_vgpr4_vgpr5_vgpr6_vgpr7_vgpr8_vgpr9_vgpr10_vgpr11_vgpr12_vgpr13_vgpr14_vgpr15
                                        ; implicit-def: $vgpr36
	s_andn2_saveexec_b64 s[0:1], s[0:1]
	s_cbranch_execnz .LBB4_23
	s_branch .LBB4_28
	.section	.rodata,"a",@progbits
	.p2align	6, 0x0
	.amdhsa_kernel _ZN4vllm21deepseek_v4_fused_ops47fusedDeepseekV4QNormRopeKVRopeQuantInsertKernelIN3c104HalfELi128EEEvPKT_PS4_S6_PhPKlSA_PKffiiiii
		.amdhsa_group_segment_fixed_size 0
		.amdhsa_private_segment_fixed_size 0
		.amdhsa_kernarg_size 336
		.amdhsa_user_sgpr_count 2
		.amdhsa_user_sgpr_dispatch_ptr 0
		.amdhsa_user_sgpr_queue_ptr 0
		.amdhsa_user_sgpr_kernarg_segment_ptr 1
		.amdhsa_user_sgpr_dispatch_id 0
		.amdhsa_user_sgpr_kernarg_preload_length 0
		.amdhsa_user_sgpr_kernarg_preload_offset 0
		.amdhsa_user_sgpr_private_segment_size 0
		.amdhsa_uses_dynamic_stack 0
		.amdhsa_enable_private_segment 0
		.amdhsa_system_sgpr_workgroup_id_x 1
		.amdhsa_system_sgpr_workgroup_id_y 0
		.amdhsa_system_sgpr_workgroup_id_z 0
		.amdhsa_system_sgpr_workgroup_info 0
		.amdhsa_system_vgpr_workitem_id 0
		.amdhsa_next_free_vgpr 46
		.amdhsa_next_free_sgpr 24
		.amdhsa_accum_offset 48
		.amdhsa_reserve_vcc 1
		.amdhsa_float_round_mode_32 0
		.amdhsa_float_round_mode_16_64 0
		.amdhsa_float_denorm_mode_32 3
		.amdhsa_float_denorm_mode_16_64 3
		.amdhsa_dx10_clamp 1
		.amdhsa_ieee_mode 1
		.amdhsa_fp16_overflow 0
		.amdhsa_tg_split 0
		.amdhsa_exception_fp_ieee_invalid_op 0
		.amdhsa_exception_fp_denorm_src 0
		.amdhsa_exception_fp_ieee_div_zero 0
		.amdhsa_exception_fp_ieee_overflow 0
		.amdhsa_exception_fp_ieee_underflow 0
		.amdhsa_exception_fp_ieee_inexact 0
		.amdhsa_exception_int_div_zero 0
	.end_amdhsa_kernel
	.section	.text._ZN4vllm21deepseek_v4_fused_ops47fusedDeepseekV4QNormRopeKVRopeQuantInsertKernelIN3c104HalfELi128EEEvPKT_PS4_S6_PhPKlSA_PKffiiiii,"axG",@progbits,_ZN4vllm21deepseek_v4_fused_ops47fusedDeepseekV4QNormRopeKVRopeQuantInsertKernelIN3c104HalfELi128EEEvPKT_PS4_S6_PhPKlSA_PKffiiiii,comdat
.Lfunc_end4:
	.size	_ZN4vllm21deepseek_v4_fused_ops47fusedDeepseekV4QNormRopeKVRopeQuantInsertKernelIN3c104HalfELi128EEEvPKT_PS4_S6_PhPKlSA_PKffiiiii, .Lfunc_end4-_ZN4vllm21deepseek_v4_fused_ops47fusedDeepseekV4QNormRopeKVRopeQuantInsertKernelIN3c104HalfELi128EEEvPKT_PS4_S6_PhPKlSA_PKffiiiii
                                        ; -- End function
	.section	.AMDGPU.csdata,"",@progbits
; Kernel info:
; codeLenInByte = 2940
; NumSgprs: 30
; NumVgprs: 46
; NumAgprs: 0
; TotalNumVgprs: 46
; ScratchSize: 0
; MemoryBound: 1
; FloatMode: 240
; IeeeMode: 1
; LDSByteSize: 0 bytes/workgroup (compile time only)
; SGPRBlocks: 3
; VGPRBlocks: 5
; NumSGPRsForWavesPerEU: 30
; NumVGPRsForWavesPerEU: 46
; AccumOffset: 48
; Occupancy: 8
; WaveLimiterHint : 1
; COMPUTE_PGM_RSRC2:SCRATCH_EN: 0
; COMPUTE_PGM_RSRC2:USER_SGPR: 2
; COMPUTE_PGM_RSRC2:TRAP_HANDLER: 0
; COMPUTE_PGM_RSRC2:TGID_X_EN: 1
; COMPUTE_PGM_RSRC2:TGID_Y_EN: 0
; COMPUTE_PGM_RSRC2:TGID_Z_EN: 0
; COMPUTE_PGM_RSRC2:TIDIG_COMP_CNT: 0
; COMPUTE_PGM_RSRC3_GFX90A:ACCUM_OFFSET: 11
; COMPUTE_PGM_RSRC3_GFX90A:TG_SPLIT: 0
	.section	.text._ZN4vllm21deepseek_v4_fused_ops47fusedDeepseekV4QNormRopeKVRopeQuantInsertKernelIN3c108BFloat16ELi8EEEvPKT_PS4_S6_PhPKlSA_PKffiiiii,"axG",@progbits,_ZN4vllm21deepseek_v4_fused_ops47fusedDeepseekV4QNormRopeKVRopeQuantInsertKernelIN3c108BFloat16ELi8EEEvPKT_PS4_S6_PhPKlSA_PKffiiiii,comdat
	.protected	_ZN4vllm21deepseek_v4_fused_ops47fusedDeepseekV4QNormRopeKVRopeQuantInsertKernelIN3c108BFloat16ELi8EEEvPKT_PS4_S6_PhPKlSA_PKffiiiii ; -- Begin function _ZN4vllm21deepseek_v4_fused_ops47fusedDeepseekV4QNormRopeKVRopeQuantInsertKernelIN3c108BFloat16ELi8EEEvPKT_PS4_S6_PhPKlSA_PKffiiiii
	.globl	_ZN4vllm21deepseek_v4_fused_ops47fusedDeepseekV4QNormRopeKVRopeQuantInsertKernelIN3c108BFloat16ELi8EEEvPKT_PS4_S6_PhPKlSA_PKffiiiii
	.p2align	8
	.type	_ZN4vllm21deepseek_v4_fused_ops47fusedDeepseekV4QNormRopeKVRopeQuantInsertKernelIN3c108BFloat16ELi8EEEvPKT_PS4_S6_PhPKlSA_PKffiiiii,@function
_ZN4vllm21deepseek_v4_fused_ops47fusedDeepseekV4QNormRopeKVRopeQuantInsertKernelIN3c108BFloat16ELi8EEEvPKT_PS4_S6_PhPKlSA_PKffiiiii: ; @_ZN4vllm21deepseek_v4_fused_ops47fusedDeepseekV4QNormRopeKVRopeQuantInsertKernelIN3c108BFloat16ELi8EEEvPKT_PS4_S6_PhPKlSA_PKffiiiii
; %bb.0:
	s_load_dword s3, s[0:1], 0x5c
	s_load_dwordx4 s[12:15], s[0:1], 0x38
	v_lshrrev_b32_e32 v1, 5, v0
	s_waitcnt lgkmcnt(0)
	s_bfe_u32 s3, s3, 0xb0005
	s_mul_i32 s2, s2, s3
	v_add_u32_e32 v1, s2, v1
	s_mov_b32 s2, 0x38e38e39
	v_mul_hi_i32 v2, v1, s2
	v_lshrrev_b32_e32 v3, 31, v2
	v_ashrrev_i32_e32 v2, 1, v2
	v_add_u32_e32 v32, v2, v3
	v_cmp_gt_i32_e32 vcc, s13, v32
	s_and_saveexec_b64 s[2:3], vcc
	s_cbranch_execz .LBB5_154
; %bb.1:
	s_load_dwordx2 s[16:17], s[0:1], 0x48
	v_lshl_add_u32 v2, v32, 3, v32
	v_sub_u32_e32 v34, v1, v2
	v_cmp_ne_u32_e64 s[2:3], 8, v34
	v_cmp_gt_i32_e64 s[4:5], s14, v32
	v_cmp_eq_u32_e32 vcc, 8, v34
	s_or_b64 s[4:5], s[2:3], s[4:5]
	s_and_b64 exec, exec, s[4:5]
	s_cbranch_execz .LBB5_154
; %bb.2:
	s_load_dwordx4 s[8:11], s[0:1], 0x18
	s_load_dwordx2 s[18:19], s[0:1], 0x28
	v_cmp_gt_i32_e64 s[4:5], s15, v34
	s_xor_b64 s[6:7], s[2:3], -1
	v_lshlrev_b32_e32 v0, 4, v0
	s_or_b64 s[6:7], s[6:7], s[4:5]
	v_and_b32_e32 v36, 0x1f0, v0
	v_ashrrev_i32_e32 v33, 31, v32
                                        ; implicit-def: $vgpr9
                                        ; implicit-def: $vgpr17
	s_and_saveexec_b64 s[4:5], s[6:7]
	s_cbranch_execz .LBB5_8
; %bb.3:
                                        ; implicit-def: $vgpr0_vgpr1
	s_and_saveexec_b64 s[20:21], vcc
	s_xor_b64 s[20:21], exec, s[20:21]
	s_cbranch_execz .LBB5_5
; %bb.4:
	s_load_dwordx2 s[22:23], s[0:1], 0x10
	v_lshlrev_b64 v[0:1], 10, v[32:33]
	v_lshlrev_b32_e32 v2, 1, v36
	v_mov_b32_e32 v3, 0
	s_waitcnt lgkmcnt(0)
	v_lshl_add_u64 v[0:1], s[22:23], 0, v[0:1]
	v_lshl_add_u64 v[0:1], v[0:1], 0, v[2:3]
.LBB5_5:
	s_andn2_saveexec_b64 s[20:21], s[20:21]
	s_cbranch_execz .LBB5_7
; %bb.6:
	s_load_dwordx2 s[22:23], s[0:1], 0x0
	v_ashrrev_i32_e32 v35, 31, v34
	v_mad_i64_i32 v[0:1], s[14:15], v32, s15, v[34:35]
	v_lshlrev_b64 v[0:1], 10, v[0:1]
	v_lshl_or_b32 v0, v36, 1, v0
	s_waitcnt lgkmcnt(0)
	v_lshl_add_u64 v[0:1], s[22:23], 0, v[0:1]
.LBB5_7:
	s_or_b64 exec, exec, s[20:21]
	global_load_dwordx4 v[6:9], v[0:1], off
	global_load_dwordx4 v[14:17], v[0:1], off offset:16
.LBB5_8:
	s_or_b64 exec, exec, s[4:5]
	s_load_dwordx2 s[4:5], s[0:1], 0x8
	s_load_dwordx2 s[14:15], s[0:1], 0x30
	s_and_saveexec_b64 s[0:1], s[6:7]
	s_xor_b64 s[6:7], exec, s[0:1]
	s_cbranch_execz .LBB5_152
; %bb.9:
	s_waitcnt vmcnt(1)
	v_and_b32_e32 v1, 0xffff0000, v6
	v_lshlrev_b32_e32 v0, 16, v6
	v_and_b32_e32 v3, 0xffff0000, v7
	v_lshlrev_b32_e32 v2, 16, v7
	;; [unrolled: 2-line block ×4, first 2 shown]
	s_waitcnt vmcnt(0)
	v_and_b32_e32 v9, 0xffff0000, v14
	v_lshlrev_b32_e32 v8, 16, v14
	v_and_b32_e32 v11, 0xffff0000, v15
	v_lshlrev_b32_e32 v10, 16, v15
	v_and_b32_e32 v13, 0xffff0000, v16
	v_lshlrev_b32_e32 v12, 16, v16
	v_and_b32_e32 v15, 0xffff0000, v17
	v_lshlrev_b32_e32 v14, 16, v17
	s_and_saveexec_b64 s[20:21], s[2:3]
	s_cbranch_execz .LBB5_11
; %bb.10:
	v_pk_mul_f32 v[16:17], v[0:1], v[0:1]
	v_pk_mul_f32 v[18:19], v[2:3], v[2:3]
	v_add_f32_e32 v16, v16, v17
	v_add_f32_e32 v16, v18, v16
	v_pk_mul_f32 v[20:21], v[4:5], v[4:5]
	v_add_f32_e32 v16, v19, v16
	v_add_f32_e32 v16, v20, v16
	;; [unrolled: 3-line block ×4, first 2 shown]
	v_pk_mul_f32 v[26:27], v[10:11], v[10:11]
	v_add_f32_e32 v16, v25, v16
	v_mbcnt_lo_u32_b32 v17, -1, 0
	v_add_f32_e32 v16, v26, v16
	v_mbcnt_hi_u32_b32 v17, -1, v17
	v_pk_mul_f32 v[28:29], v[12:13], v[12:13]
	v_add_f32_e32 v16, v27, v16
	v_and_b32_e32 v18, 0x60, v17
	v_add_f32_e32 v16, v28, v16
	v_add_u32_e32 v18, 32, v18
	v_xor_b32_e32 v19, 16, v17
	v_pk_mul_f32 v[30:31], v[14:15], v[14:15]
	v_add_f32_e32 v16, v29, v16
	v_cmp_lt_i32_e64 s[0:1], v19, v18
	v_add_f32_e32 v16, v30, v16
	v_add_f32_e32 v16, v31, v16
	v_cndmask_b32_e64 v19, v17, v19, s[0:1]
	v_lshlrev_b32_e32 v19, 2, v19
	ds_bpermute_b32 v19, v19, v16
	s_waitcnt lgkmcnt(0)
	v_add_f32_e32 v16, v16, v19
	v_xor_b32_e32 v19, 8, v17
	v_cmp_lt_i32_e64 s[0:1], v19, v18
	s_nop 1
	v_cndmask_b32_e64 v19, v17, v19, s[0:1]
	v_lshlrev_b32_e32 v19, 2, v19
	ds_bpermute_b32 v19, v19, v16
	s_waitcnt lgkmcnt(0)
	v_add_f32_e32 v16, v16, v19
	v_xor_b32_e32 v19, 4, v17
	v_cmp_lt_i32_e64 s[0:1], v19, v18
	s_nop 1
	;; [unrolled: 8-line block ×4, first 2 shown]
	v_cndmask_b32_e64 v17, v17, v19, s[0:1]
	v_lshlrev_b32_e32 v17, 2, v17
	ds_bpermute_b32 v17, v17, v16
	s_mov_b32 s0, 0x800000
	s_waitcnt lgkmcnt(0)
	v_add_f32_e32 v16, v16, v17
	v_mov_b32_e32 v17, s12
	v_fmamk_f32 v16, v16, 0x3b000000, v17
	v_mul_f32_e32 v17, 0x4b800000, v16
	v_cmp_gt_f32_e64 s[0:1], s0, v16
	s_nop 1
	v_cndmask_b32_e64 v16, v16, v17, s[0:1]
	v_rsq_f32_e32 v16, v16
	s_nop 0
	v_mul_f32_e32 v17, 0x45800000, v16
	v_cndmask_b32_e64 v16, v16, v17, s[0:1]
	v_pk_mul_f32 v[14:15], v[16:17], v[14:15] op_sel_hi:[0,1]
	v_pk_mul_f32 v[12:13], v[16:17], v[12:13] op_sel_hi:[0,1]
	;; [unrolled: 1-line block ×8, first 2 shown]
.LBB5_11:
	s_or_b64 exec, exec, s[20:21]
	s_movk_i32 s0, 0x1c0
	s_movk_i32 s2, 0x1bf
	v_cmp_gt_u32_e64 s[0:1], s0, v36
	v_cmp_lt_u32_e64 s[2:3], s2, v36
	s_and_saveexec_b64 s[12:13], s[2:3]
	s_cbranch_execnz .LBB5_14
; %bb.12:
	s_or_b64 exec, exec, s[12:13]
	s_and_saveexec_b64 s[2:3], vcc
	s_xor_b64 s[12:13], exec, s[2:3]
	s_cbranch_execnz .LBB5_15
.LBB5_13:
	s_andn2_saveexec_b64 s[0:1], s[12:13]
	s_cbranch_execnz .LBB5_86
	s_branch .LBB5_151
.LBB5_14:
	s_waitcnt lgkmcnt(0)
	v_lshl_add_u64 v[16:17], v[32:33], 3, s[18:19]
	global_load_dwordx2 v[16:17], v[16:17], off
	v_add_u32_e32 v18, 0xfffffe40, v36
	v_mov_b32_e32 v19, 0
	v_lshrrev_b32_e32 v18, 1, v18
	s_waitcnt vmcnt(0)
	v_lshlrev_b64 v[16:17], 8, v[16:17]
	v_lshl_add_u64 v[16:17], s[14:15], 0, v[16:17]
	v_lshl_add_u64 v[16:17], v[18:19], 2, v[16:17]
	global_load_dwordx4 v[20:23], v[16:17], off offset:128
	global_load_dwordx4 v[28:31], v[16:17], off offset:144
	global_load_dwordx4 v[38:41], v[16:17], off
	global_load_dwordx4 v[42:45], v[16:17], off offset:16
	s_waitcnt vmcnt(3)
	v_mul_f32_e32 v16, v1, v20
	v_mul_f32_e32 v17, v0, v20
	;; [unrolled: 1-line block ×8, first 2 shown]
	s_waitcnt vmcnt(2)
	v_mul_f32_e32 v24, v9, v28
	v_mul_f32_e32 v25, v8, v28
	;; [unrolled: 1-line block ×8, first 2 shown]
	s_waitcnt vmcnt(1)
	v_fma_f32 v16, v0, v38, -v16
	v_fmac_f32_e32 v17, v1, v38
	v_fma_f32 v18, v2, v39, -v18
	v_fmac_f32_e32 v19, v3, v39
	;; [unrolled: 2-line block ×4, first 2 shown]
	s_waitcnt vmcnt(0)
	v_fma_f32 v24, v8, v42, -v24
	v_fmac_f32_e32 v25, v9, v42
	v_fma_f32 v26, v10, v43, -v26
	v_fmac_f32_e32 v27, v11, v43
	;; [unrolled: 2-line block ×4, first 2 shown]
	v_mov_b64_e32 v[0:1], v[16:17]
	v_mov_b64_e32 v[2:3], v[18:19]
	;; [unrolled: 1-line block ×8, first 2 shown]
	s_or_b64 exec, exec, s[12:13]
	s_and_saveexec_b64 s[2:3], vcc
	s_xor_b64 s[12:13], exec, s[2:3]
	s_cbranch_execz .LBB5_13
.LBB5_15:
	s_waitcnt lgkmcnt(0)
	v_lshl_add_u64 v[16:17], v[32:33], 3, s[10:11]
	global_load_dwordx2 v[16:17], v[16:17], off
	s_waitcnt vmcnt(0)
	v_cmp_lt_i64_e32 vcc, -1, v[16:17]
	s_and_saveexec_b64 s[10:11], vcc
	s_cbranch_execz .LBB5_85
; %bb.16:
	s_ashr_i32 s22, s16, 31
	v_or_b32_e32 v21, s22, v17
	v_mov_b32_e32 v20, 0
	v_cmp_ne_u64_e32 vcc, 0, v[20:21]
                                        ; implicit-def: $vgpr18_vgpr19
	s_and_saveexec_b64 s[2:3], vcc
	s_xor_b64 s[14:15], exec, s[2:3]
	s_cbranch_execz .LBB5_18
; %bb.17:
	s_add_u32 s2, s16, s22
	s_mov_b32 s18, s22
	s_mov_b32 s19, s22
	s_addc_u32 s3, s22, s22
	s_xor_b64 s[20:21], s[2:3], s[18:19]
	v_cvt_f32_u32_e32 v18, s20
	v_cvt_f32_u32_e32 v19, s21
	s_sub_u32 s2, 0, s20
	s_subb_u32 s3, 0, s21
	v_mov_b32_e32 v23, v20
	v_fmamk_f32 v18, v19, 0x4f800000, v18
	v_rcp_f32_e32 v18, v18
	s_nop 0
	v_mul_f32_e32 v18, 0x5f7ffffc, v18
	v_mul_f32_e32 v19, 0x2f800000, v18
	v_trunc_f32_e32 v19, v19
	v_fmamk_f32 v18, v19, 0xcf800000, v18
	v_cvt_u32_f32_e32 v21, v19
	v_cvt_u32_f32_e32 v24, v18
	v_mul_lo_u32 v18, s2, v21
	v_mul_hi_u32 v22, s2, v24
	v_mul_lo_u32 v19, s3, v24
	v_add_u32_e32 v18, v22, v18
	v_mul_lo_u32 v25, s2, v24
	v_add_u32_e32 v26, v18, v19
	v_mul_hi_u32 v19, v24, v26
	v_mul_lo_u32 v18, v24, v26
	v_mul_hi_u32 v22, v24, v25
	v_lshl_add_u64 v[18:19], v[22:23], 0, v[18:19]
	v_mul_hi_u32 v23, v21, v25
	v_mul_lo_u32 v25, v21, v25
	v_add_co_u32_e32 v18, vcc, v18, v25
	v_mul_hi_u32 v22, v21, v26
	s_nop 0
	v_addc_co_u32_e32 v18, vcc, v19, v23, vcc
	v_mov_b32_e32 v19, v20
	s_nop 0
	v_addc_co_u32_e32 v23, vcc, 0, v22, vcc
	v_mul_lo_u32 v22, v21, v26
	v_lshl_add_u64 v[18:19], v[18:19], 0, v[22:23]
	v_add_co_u32_e32 v24, vcc, v24, v18
	v_mul_lo_u32 v22, s2, v24
	s_nop 0
	v_addc_co_u32_e32 v21, vcc, v21, v19, vcc
	v_mul_lo_u32 v18, s2, v21
	v_mul_hi_u32 v19, s2, v24
	v_add_u32_e32 v18, v19, v18
	v_mul_lo_u32 v19, s3, v24
	v_add_u32_e32 v25, v18, v19
	v_mul_hi_u32 v27, v21, v22
	v_mul_lo_u32 v28, v21, v22
	v_mul_hi_u32 v19, v24, v25
	v_mul_lo_u32 v18, v24, v25
	v_mul_hi_u32 v22, v24, v22
	v_mov_b32_e32 v23, v20
	v_lshl_add_u64 v[18:19], v[22:23], 0, v[18:19]
	v_add_co_u32_e32 v18, vcc, v18, v28
	v_mul_hi_u32 v26, v21, v25
	s_nop 0
	v_addc_co_u32_e32 v18, vcc, v19, v27, vcc
	v_mul_lo_u32 v22, v21, v25
	s_nop 0
	v_addc_co_u32_e32 v23, vcc, 0, v26, vcc
	v_mov_b32_e32 v19, v20
	v_lshl_add_u64 v[18:19], v[18:19], 0, v[22:23]
	v_add_co_u32_e32 v26, vcc, v24, v18
	v_ashrrev_i32_e32 v18, 31, v17
	s_nop 0
	v_addc_co_u32_e32 v21, vcc, v21, v19, vcc
	v_mov_b32_e32 v19, v18
	v_lshl_add_u64 v[22:23], v[16:17], 0, v[18:19]
	v_xor_b32_e32 v28, v22, v18
	v_xor_b32_e32 v19, v23, v18
	v_mad_u64_u32 v[22:23], s[2:3], v28, v21, 0
	v_mul_hi_u32 v24, v28, v26
	v_mov_b32_e32 v25, v20
	v_lshl_add_u64 v[22:23], v[24:25], 0, v[22:23]
	v_mad_u64_u32 v[26:27], s[2:3], v19, v26, 0
	v_mad_u64_u32 v[24:25], s[2:3], v19, v21, 0
	v_add_co_u32_e32 v21, vcc, v22, v26
	s_nop 1
	v_addc_co_u32_e32 v22, vcc, v23, v27, vcc
	v_mov_b32_e32 v23, v20
	s_nop 0
	v_addc_co_u32_e32 v25, vcc, 0, v25, vcc
	v_lshl_add_u64 v[20:21], v[22:23], 0, v[24:25]
	v_mul_lo_u32 v24, s21, v20
	v_mul_lo_u32 v25, s20, v21
	v_mad_u64_u32 v[22:23], s[2:3], s20, v20, 0
	v_add3_u32 v26, v23, v25, v24
	v_sub_u32_e32 v23, v19, v26
	v_mov_b32_e32 v24, s21
	v_sub_co_u32_e32 v27, vcc, v28, v22
	s_nop 1
	v_subb_co_u32_e64 v22, s[2:3], v23, v24, vcc
	v_subrev_co_u32_e64 v23, s[2:3], s20, v27
	v_subb_co_u32_e32 v19, vcc, v19, v26, vcc
	s_nop 0
	v_subbrev_co_u32_e64 v22, s[2:3], 0, v22, s[2:3]
	v_cmp_le_u32_e64 s[2:3], s21, v22
	v_cmp_le_u32_e32 vcc, s21, v19
	s_nop 0
	v_cndmask_b32_e64 v24, 0, -1, s[2:3]
	v_cmp_le_u32_e64 s[2:3], s20, v23
	s_nop 1
	v_cndmask_b32_e64 v23, 0, -1, s[2:3]
	v_cmp_eq_u32_e64 s[2:3], s21, v22
	s_nop 1
	v_cndmask_b32_e64 v28, v24, v23, s[2:3]
	v_lshl_add_u64 v[22:23], v[20:21], 0, 2
	v_lshl_add_u64 v[24:25], v[20:21], 0, 1
	v_cmp_ne_u32_e64 s[2:3], 0, v28
	s_nop 1
	v_cndmask_b32_e64 v23, v25, v23, s[2:3]
	v_cndmask_b32_e64 v25, 0, -1, vcc
	v_cmp_le_u32_e32 vcc, s20, v27
	s_nop 1
	v_cndmask_b32_e64 v26, 0, -1, vcc
	v_cmp_eq_u32_e32 vcc, s21, v19
	s_nop 1
	v_cndmask_b32_e32 v19, v25, v26, vcc
	v_cmp_ne_u32_e32 vcc, 0, v19
	s_nop 1
	v_cndmask_b32_e32 v19, v21, v23, vcc
	v_cndmask_b32_e64 v21, v24, v22, s[2:3]
	v_cndmask_b32_e32 v20, v20, v21, vcc
	v_xor_b32_e32 v21, s19, v18
	v_xor_b32_e32 v18, s18, v18
	v_xor_b32_e32 v20, v20, v18
	v_xor_b32_e32 v19, v19, v21
	v_sub_co_u32_e32 v18, vcc, v20, v18
	s_nop 1
	v_subb_co_u32_e32 v19, vcc, v19, v21, vcc
.LBB5_18:
	s_andn2_saveexec_b64 s[2:3], s[14:15]
	s_cbranch_execz .LBB5_20
; %bb.19:
	v_cvt_f32_u32_e32 v18, s16
	s_sub_i32 s14, 0, s16
	v_rcp_iflag_f32_e32 v18, v18
	s_nop 0
	v_mul_f32_e32 v18, 0x4f7ffffe, v18
	v_cvt_u32_f32_e32 v18, v18
	v_mul_lo_u32 v19, s14, v18
	v_mul_hi_u32 v19, v18, v19
	v_add_u32_e32 v18, v18, v19
	v_mul_hi_u32 v18, v16, v18
	v_mul_lo_u32 v19, v18, s16
	v_sub_u32_e32 v19, v16, v19
	v_add_u32_e32 v20, 1, v18
	v_subrev_u32_e32 v21, s16, v19
	v_cmp_le_u32_e32 vcc, s16, v19
	s_nop 1
	v_cndmask_b32_e32 v19, v19, v21, vcc
	v_cndmask_b32_e32 v18, v18, v20, vcc
	v_add_u32_e32 v20, 1, v18
	v_cmp_le_u32_e32 vcc, s16, v19
	v_mov_b32_e32 v19, 0
	s_nop 0
	v_cndmask_b32_e32 v18, v18, v20, vcc
.LBB5_20:
	s_or_b64 exec, exec, s[2:3]
	s_mov_b32 s2, 0x7f800000
	v_and_b32_e32 v20, 0x7f800000, v0
	v_cmp_ne_u32_e32 vcc, s2, v20
                                        ; implicit-def: $vgpr20
	s_and_saveexec_b64 s[2:3], vcc
	s_xor_b64 s[2:3], exec, s[2:3]
; %bb.21:
	v_bfe_u32 v20, v0, 16, 1
	s_movk_i32 s14, 0x7fff
	v_add3_u32 v20, v0, v20, s14
; %bb.22:
	s_andn2_saveexec_b64 s[2:3], s[2:3]
; %bb.23:
	v_mov_b32_e32 v20, 0
	v_or_b32_e32 v21, 0x10000, v0
	v_cmp_eq_u32_sdwa vcc, v0, v20 src0_sel:WORD_0 src1_sel:DWORD
	s_nop 1
	v_cndmask_b32_e32 v20, v21, v0, vcc
; %bb.24:
	s_or_b64 exec, exec, s[2:3]
	s_mov_b32 s2, 0x7f800000
	v_and_b32_e32 v0, 0x7f800000, v1
	v_cmp_ne_u32_e32 vcc, s2, v0
                                        ; implicit-def: $vgpr21
	s_and_saveexec_b64 s[2:3], vcc
	s_xor_b64 s[2:3], exec, s[2:3]
; %bb.25:
	v_bfe_u32 v0, v1, 16, 1
	s_movk_i32 s14, 0x7fff
	v_add3_u32 v21, v1, v0, s14
; %bb.26:
	s_andn2_saveexec_b64 s[2:3], s[2:3]
; %bb.27:
	v_mov_b32_e32 v0, 0
	v_or_b32_e32 v21, 0x10000, v1
	v_cmp_eq_u32_sdwa vcc, v1, v0 src0_sel:WORD_0 src1_sel:DWORD
	s_nop 1
	v_cndmask_b32_e32 v21, v21, v1, vcc
; %bb.28:
	s_or_b64 exec, exec, s[2:3]
	s_mov_b32 s2, 0x7f800000
	v_and_b32_e32 v0, 0x7f800000, v2
	v_cmp_ne_u32_e32 vcc, s2, v0
                                        ; implicit-def: $vgpr22
	s_and_saveexec_b64 s[2:3], vcc
	s_xor_b64 s[2:3], exec, s[2:3]
; %bb.29:
	v_bfe_u32 v0, v2, 16, 1
	s_movk_i32 s14, 0x7fff
	v_add3_u32 v22, v2, v0, s14
; %bb.30:
	s_andn2_saveexec_b64 s[2:3], s[2:3]
; %bb.31:
	v_mov_b32_e32 v0, 0
	v_or_b32_e32 v1, 0x10000, v2
	v_cmp_eq_u32_sdwa vcc, v2, v0 src0_sel:WORD_0 src1_sel:DWORD
	s_nop 1
	v_cndmask_b32_e32 v22, v1, v2, vcc
; %bb.32:
	s_or_b64 exec, exec, s[2:3]
	s_mov_b32 s2, 0x7f800000
	v_and_b32_e32 v0, 0x7f800000, v3
	v_cmp_ne_u32_e32 vcc, s2, v0
                                        ; implicit-def: $vgpr23
	s_and_saveexec_b64 s[2:3], vcc
	s_xor_b64 s[2:3], exec, s[2:3]
; %bb.33:
	v_bfe_u32 v0, v3, 16, 1
	s_movk_i32 s14, 0x7fff
	v_add3_u32 v23, v3, v0, s14
; %bb.34:
	s_andn2_saveexec_b64 s[2:3], s[2:3]
; %bb.35:
	v_mov_b32_e32 v0, 0
	v_or_b32_e32 v1, 0x10000, v3
	v_cmp_eq_u32_sdwa vcc, v3, v0 src0_sel:WORD_0 src1_sel:DWORD
	s_nop 1
	v_cndmask_b32_e32 v23, v1, v3, vcc
; %bb.36:
	s_or_b64 exec, exec, s[2:3]
	s_mov_b32 s2, 0x7f800000
	v_and_b32_e32 v0, 0x7f800000, v4
	v_cmp_ne_u32_e32 vcc, s2, v0
                                        ; implicit-def: $vgpr24
	s_and_saveexec_b64 s[2:3], vcc
	s_xor_b64 s[2:3], exec, s[2:3]
; %bb.37:
	v_bfe_u32 v0, v4, 16, 1
	s_movk_i32 s14, 0x7fff
	v_add3_u32 v24, v4, v0, s14
; %bb.38:
	s_andn2_saveexec_b64 s[2:3], s[2:3]
; %bb.39:
	v_mov_b32_e32 v0, 0
	v_or_b32_e32 v1, 0x10000, v4
	v_cmp_eq_u32_sdwa vcc, v4, v0 src0_sel:WORD_0 src1_sel:DWORD
	s_nop 1
	v_cndmask_b32_e32 v24, v1, v4, vcc
; %bb.40:
	s_or_b64 exec, exec, s[2:3]
	s_mov_b32 s2, 0x7f800000
	v_and_b32_e32 v0, 0x7f800000, v5
	v_cmp_ne_u32_e32 vcc, s2, v0
                                        ; implicit-def: $vgpr25
	s_and_saveexec_b64 s[2:3], vcc
	s_xor_b64 s[2:3], exec, s[2:3]
; %bb.41:
	v_bfe_u32 v0, v5, 16, 1
	s_movk_i32 s14, 0x7fff
	v_add3_u32 v25, v5, v0, s14
; %bb.42:
	s_andn2_saveexec_b64 s[2:3], s[2:3]
; %bb.43:
	v_mov_b32_e32 v0, 0
	v_or_b32_e32 v1, 0x10000, v5
	v_cmp_eq_u32_sdwa vcc, v5, v0 src0_sel:WORD_0 src1_sel:DWORD
	s_nop 1
	v_cndmask_b32_e32 v25, v1, v5, vcc
; %bb.44:
	s_or_b64 exec, exec, s[2:3]
	s_mov_b32 s2, 0x7f800000
	v_and_b32_e32 v0, 0x7f800000, v6
	v_cmp_ne_u32_e32 vcc, s2, v0
                                        ; implicit-def: $vgpr26
	s_and_saveexec_b64 s[2:3], vcc
	s_xor_b64 s[2:3], exec, s[2:3]
; %bb.45:
	v_bfe_u32 v0, v6, 16, 1
	s_movk_i32 s14, 0x7fff
	v_add3_u32 v26, v6, v0, s14
; %bb.46:
	s_andn2_saveexec_b64 s[2:3], s[2:3]
; %bb.47:
	v_mov_b32_e32 v0, 0
	v_or_b32_e32 v1, 0x10000, v6
	v_cmp_eq_u32_sdwa vcc, v6, v0 src0_sel:WORD_0 src1_sel:DWORD
	s_nop 1
	v_cndmask_b32_e32 v26, v1, v6, vcc
; %bb.48:
	s_or_b64 exec, exec, s[2:3]
	s_mov_b32 s2, 0x7f800000
	v_and_b32_e32 v0, 0x7f800000, v7
	v_cmp_ne_u32_e32 vcc, s2, v0
                                        ; implicit-def: $vgpr27
	s_and_saveexec_b64 s[2:3], vcc
	s_xor_b64 s[2:3], exec, s[2:3]
; %bb.49:
	v_bfe_u32 v0, v7, 16, 1
	s_movk_i32 s14, 0x7fff
	v_add3_u32 v27, v7, v0, s14
; %bb.50:
	s_andn2_saveexec_b64 s[2:3], s[2:3]
; %bb.51:
	v_mov_b32_e32 v0, 0
	v_or_b32_e32 v1, 0x10000, v7
	v_cmp_eq_u32_sdwa vcc, v7, v0 src0_sel:WORD_0 src1_sel:DWORD
	s_nop 1
	v_cndmask_b32_e32 v27, v1, v7, vcc
; %bb.52:
	s_or_b64 exec, exec, s[2:3]
	s_mov_b32 s2, 0x7f800000
	v_and_b32_e32 v0, 0x7f800000, v8
	v_cmp_ne_u32_e32 vcc, s2, v0
                                        ; implicit-def: $vgpr28
	s_and_saveexec_b64 s[2:3], vcc
	s_xor_b64 s[2:3], exec, s[2:3]
; %bb.53:
	v_bfe_u32 v0, v8, 16, 1
	s_movk_i32 s14, 0x7fff
	v_add3_u32 v28, v8, v0, s14
; %bb.54:
	s_andn2_saveexec_b64 s[2:3], s[2:3]
; %bb.55:
	v_mov_b32_e32 v0, 0
	v_or_b32_e32 v1, 0x10000, v8
	v_cmp_eq_u32_sdwa vcc, v8, v0 src0_sel:WORD_0 src1_sel:DWORD
	s_nop 1
	v_cndmask_b32_e32 v28, v1, v8, vcc
; %bb.56:
	s_or_b64 exec, exec, s[2:3]
	s_mov_b32 s2, 0x7f800000
	v_and_b32_e32 v0, 0x7f800000, v9
	v_cmp_ne_u32_e32 vcc, s2, v0
                                        ; implicit-def: $vgpr29
	s_and_saveexec_b64 s[2:3], vcc
	s_xor_b64 s[2:3], exec, s[2:3]
; %bb.57:
	v_bfe_u32 v0, v9, 16, 1
	s_movk_i32 s14, 0x7fff
	v_add3_u32 v29, v9, v0, s14
; %bb.58:
	s_andn2_saveexec_b64 s[2:3], s[2:3]
; %bb.59:
	v_mov_b32_e32 v0, 0
	v_or_b32_e32 v1, 0x10000, v9
	v_cmp_eq_u32_sdwa vcc, v9, v0 src0_sel:WORD_0 src1_sel:DWORD
	s_nop 1
	v_cndmask_b32_e32 v29, v1, v9, vcc
; %bb.60:
	s_or_b64 exec, exec, s[2:3]
	s_mov_b32 s2, 0x7f800000
	v_and_b32_e32 v0, 0x7f800000, v10
	v_cmp_ne_u32_e32 vcc, s2, v0
                                        ; implicit-def: $vgpr30
	s_and_saveexec_b64 s[2:3], vcc
	s_xor_b64 s[2:3], exec, s[2:3]
; %bb.61:
	v_bfe_u32 v0, v10, 16, 1
	s_movk_i32 s14, 0x7fff
	v_add3_u32 v30, v10, v0, s14
; %bb.62:
	s_andn2_saveexec_b64 s[2:3], s[2:3]
; %bb.63:
	v_mov_b32_e32 v0, 0
	v_or_b32_e32 v1, 0x10000, v10
	v_cmp_eq_u32_sdwa vcc, v10, v0 src0_sel:WORD_0 src1_sel:DWORD
	s_nop 1
	v_cndmask_b32_e32 v30, v1, v10, vcc
; %bb.64:
	s_or_b64 exec, exec, s[2:3]
	s_mov_b32 s2, 0x7f800000
	v_and_b32_e32 v0, 0x7f800000, v11
	v_cmp_ne_u32_e32 vcc, s2, v0
                                        ; implicit-def: $vgpr31
	s_and_saveexec_b64 s[2:3], vcc
	s_xor_b64 s[2:3], exec, s[2:3]
; %bb.65:
	v_bfe_u32 v0, v11, 16, 1
	s_movk_i32 s14, 0x7fff
	v_add3_u32 v31, v11, v0, s14
; %bb.66:
	s_andn2_saveexec_b64 s[2:3], s[2:3]
; %bb.67:
	v_mov_b32_e32 v0, 0
	v_or_b32_e32 v1, 0x10000, v11
	v_cmp_eq_u32_sdwa vcc, v11, v0 src0_sel:WORD_0 src1_sel:DWORD
	s_nop 1
	v_cndmask_b32_e32 v31, v1, v11, vcc
; %bb.68:
	s_or_b64 exec, exec, s[2:3]
	s_mov_b32 s2, 0x7f800000
	v_and_b32_e32 v0, 0x7f800000, v12
	v_cmp_ne_u32_e32 vcc, s2, v0
                                        ; implicit-def: $vgpr32
	s_and_saveexec_b64 s[2:3], vcc
	s_xor_b64 s[2:3], exec, s[2:3]
; %bb.69:
	v_bfe_u32 v0, v12, 16, 1
	s_movk_i32 s14, 0x7fff
	v_add3_u32 v32, v12, v0, s14
; %bb.70:
	s_andn2_saveexec_b64 s[2:3], s[2:3]
; %bb.71:
	v_mov_b32_e32 v0, 0
	v_or_b32_e32 v1, 0x10000, v12
	v_cmp_eq_u32_sdwa vcc, v12, v0 src0_sel:WORD_0 src1_sel:DWORD
	s_nop 1
	v_cndmask_b32_e32 v32, v1, v12, vcc
; %bb.72:
	s_or_b64 exec, exec, s[2:3]
	s_mov_b32 s2, 0x7f800000
	v_and_b32_e32 v0, 0x7f800000, v13
	v_cmp_ne_u32_e32 vcc, s2, v0
                                        ; implicit-def: $vgpr33
	s_and_saveexec_b64 s[2:3], vcc
	s_xor_b64 s[2:3], exec, s[2:3]
; %bb.73:
	v_bfe_u32 v0, v13, 16, 1
	s_movk_i32 s14, 0x7fff
	v_add3_u32 v33, v13, v0, s14
; %bb.74:
	s_andn2_saveexec_b64 s[2:3], s[2:3]
; %bb.75:
	v_mov_b32_e32 v0, 0
	v_or_b32_e32 v1, 0x10000, v13
	v_cmp_eq_u32_sdwa vcc, v13, v0 src0_sel:WORD_0 src1_sel:DWORD
	s_nop 1
	v_cndmask_b32_e32 v33, v1, v13, vcc
; %bb.76:
	s_or_b64 exec, exec, s[2:3]
	s_mov_b32 s2, 0x7f800000
	v_and_b32_e32 v0, 0x7f800000, v14
	v_cmp_ne_u32_e32 vcc, s2, v0
                                        ; implicit-def: $vgpr34
	s_and_saveexec_b64 s[2:3], vcc
	s_xor_b64 s[2:3], exec, s[2:3]
; %bb.77:
	v_bfe_u32 v0, v14, 16, 1
	s_movk_i32 s14, 0x7fff
	v_add3_u32 v34, v14, v0, s14
; %bb.78:
	s_andn2_saveexec_b64 s[2:3], s[2:3]
; %bb.79:
	v_mov_b32_e32 v0, 0
	v_or_b32_e32 v1, 0x10000, v14
	v_cmp_eq_u32_sdwa vcc, v14, v0 src0_sel:WORD_0 src1_sel:DWORD
	s_nop 1
	v_cndmask_b32_e32 v34, v1, v14, vcc
; %bb.80:
	s_or_b64 exec, exec, s[2:3]
	s_mov_b32 s2, 0x7f800000
	v_and_b32_e32 v0, 0x7f800000, v15
	v_cmp_ne_u32_e32 vcc, s2, v0
                                        ; implicit-def: $vgpr35
	s_and_saveexec_b64 s[2:3], vcc
	s_xor_b64 s[2:3], exec, s[2:3]
	s_cbranch_execnz .LBB5_155
; %bb.81:
	s_andn2_saveexec_b64 s[2:3], s[2:3]
	s_cbranch_execnz .LBB5_156
.LBB5_82:
	s_or_b64 exec, exec, s[2:3]
	s_and_saveexec_b64 s[2:3], s[0:1]
	s_xor_b64 s[0:1], exec, s[2:3]
	s_cbranch_execnz .LBB5_157
.LBB5_83:
	s_andn2_saveexec_b64 s[0:1], s[0:1]
	s_cbranch_execz .LBB5_85
.LBB5_84:
	v_mul_lo_u32 v2, v19, s16
	v_mul_lo_u32 v3, v18, s22
	v_mad_u64_u32 v[0:1], s[0:1], v18, s16, 0
	v_add3_u32 v1, v1, v3, v2
	v_sub_co_u32_e32 v2, vcc, v16, v0
	s_ashr_i32 s2, s17, 31
	s_nop 0
	v_subb_co_u32_e32 v3, vcc, v17, v1, vcc
	v_mov_b64_e32 v[0:1], s[8:9]
	v_mad_u64_u32 v[0:1], s[0:1], v18, s17, v[0:1]
	v_mul_lo_u32 v4, v19, s17
	v_mul_lo_u32 v5, v18, s2
	v_add3_u32 v1, v4, v1, v5
	s_movk_i32 s2, 0x240
	v_mad_u64_u32 v[0:1], s[0:1], v2, s2, v[0:1]
	v_mov_b32_e32 v2, v1
	v_mad_u64_u32 v[2:3], s[0:1], v3, s2, v[2:3]
	v_mov_b32_e32 v1, v2
	v_lshlrev_b32_e32 v2, 1, v36
	v_mov_b32_e32 v3, 0
	s_mov_b32 s0, 0x7060302
	v_lshl_add_u64 v[4:5], v[0:1], 0, v[2:3]
	v_perm_b32 v3, v27, v26, s0
	v_perm_b32 v2, v25, v24, s0
	;; [unrolled: 1-line block ×4, first 2 shown]
	global_store_dwordx4 v[4:5], v[0:3], off offset:-448
	s_nop 1
	v_perm_b32 v3, v35, v34, s0
	v_perm_b32 v2, v33, v32, s0
	;; [unrolled: 1-line block ×4, first 2 shown]
	global_store_dwordx4 v[4:5], v[0:3], off offset:-432
.LBB5_85:
	s_or_b64 exec, exec, s[10:11]
                                        ; implicit-def: $vgpr32
                                        ; implicit-def: $vgpr34
                                        ; implicit-def: $vgpr36
                                        ; implicit-def: $vgpr0_vgpr1_vgpr2_vgpr3_vgpr4_vgpr5_vgpr6_vgpr7_vgpr8_vgpr9_vgpr10_vgpr11_vgpr12_vgpr13_vgpr14_vgpr15
	s_andn2_saveexec_b64 s[0:1], s[12:13]
	s_cbranch_execz .LBB5_151
.LBB5_86:
	s_mov_b32 s2, 0x7f800000
	v_and_b32_e32 v16, 0x7f800000, v0
	v_cmp_ne_u32_e32 vcc, s2, v16
                                        ; implicit-def: $vgpr16
	s_and_saveexec_b64 s[2:3], vcc
	s_xor_b64 s[2:3], exec, s[2:3]
	s_cbranch_execz .LBB5_88
; %bb.87:
	v_bfe_u32 v16, v0, 16, 1
	s_waitcnt lgkmcnt(0)
	s_movk_i32 s8, 0x7fff
	v_add3_u32 v16, v0, v16, s8
.LBB5_88:
	s_andn2_saveexec_b64 s[2:3], s[2:3]
; %bb.89:
	v_mov_b32_e32 v16, 0
	v_or_b32_e32 v17, 0x10000, v0
	v_cmp_eq_u32_sdwa vcc, v0, v16 src0_sel:WORD_0 src1_sel:DWORD
	s_nop 1
	v_cndmask_b32_e32 v16, v17, v0, vcc
; %bb.90:
	s_or_b64 exec, exec, s[2:3]
	s_mov_b32 s2, 0x7f800000
	v_and_b32_e32 v0, 0x7f800000, v1
	v_cmp_ne_u32_e32 vcc, s2, v0
                                        ; implicit-def: $vgpr17
	s_and_saveexec_b64 s[2:3], vcc
	s_xor_b64 s[2:3], exec, s[2:3]
	s_cbranch_execz .LBB5_92
; %bb.91:
	v_bfe_u32 v0, v1, 16, 1
	s_waitcnt lgkmcnt(0)
	s_movk_i32 s8, 0x7fff
	v_add3_u32 v17, v1, v0, s8
.LBB5_92:
	s_andn2_saveexec_b64 s[2:3], s[2:3]
; %bb.93:
	v_mov_b32_e32 v0, 0
	v_or_b32_e32 v17, 0x10000, v1
	v_cmp_eq_u32_sdwa vcc, v1, v0 src0_sel:WORD_0 src1_sel:DWORD
	s_nop 1
	v_cndmask_b32_e32 v17, v17, v1, vcc
; %bb.94:
	s_or_b64 exec, exec, s[2:3]
	s_mov_b32 s2, 0x7f800000
	v_and_b32_e32 v0, 0x7f800000, v2
	v_cmp_ne_u32_e32 vcc, s2, v0
                                        ; implicit-def: $vgpr18
	s_and_saveexec_b64 s[2:3], vcc
	s_xor_b64 s[2:3], exec, s[2:3]
	s_cbranch_execz .LBB5_96
; %bb.95:
	v_bfe_u32 v0, v2, 16, 1
	s_waitcnt lgkmcnt(0)
	s_movk_i32 s8, 0x7fff
	v_add3_u32 v18, v2, v0, s8
.LBB5_96:
	s_andn2_saveexec_b64 s[2:3], s[2:3]
; %bb.97:
	v_mov_b32_e32 v0, 0
	v_or_b32_e32 v1, 0x10000, v2
	v_cmp_eq_u32_sdwa vcc, v2, v0 src0_sel:WORD_0 src1_sel:DWORD
	s_nop 1
	v_cndmask_b32_e32 v18, v1, v2, vcc
; %bb.98:
	s_or_b64 exec, exec, s[2:3]
	s_mov_b32 s2, 0x7f800000
	v_and_b32_e32 v0, 0x7f800000, v3
	v_cmp_ne_u32_e32 vcc, s2, v0
                                        ; implicit-def: $vgpr19
	s_and_saveexec_b64 s[2:3], vcc
	s_xor_b64 s[2:3], exec, s[2:3]
	s_cbranch_execz .LBB5_100
; %bb.99:
	v_bfe_u32 v0, v3, 16, 1
	s_waitcnt lgkmcnt(0)
	s_movk_i32 s8, 0x7fff
	v_add3_u32 v19, v3, v0, s8
.LBB5_100:
	s_andn2_saveexec_b64 s[2:3], s[2:3]
; %bb.101:
	v_mov_b32_e32 v0, 0
	v_or_b32_e32 v1, 0x10000, v3
	v_cmp_eq_u32_sdwa vcc, v3, v0 src0_sel:WORD_0 src1_sel:DWORD
	s_nop 1
	v_cndmask_b32_e32 v19, v1, v3, vcc
; %bb.102:
	s_or_b64 exec, exec, s[2:3]
	s_mov_b32 s2, 0x7f800000
	v_and_b32_e32 v0, 0x7f800000, v4
	v_cmp_ne_u32_e32 vcc, s2, v0
                                        ; implicit-def: $vgpr20
	s_and_saveexec_b64 s[2:3], vcc
	s_xor_b64 s[2:3], exec, s[2:3]
	s_cbranch_execz .LBB5_104
; %bb.103:
	v_bfe_u32 v0, v4, 16, 1
	s_waitcnt lgkmcnt(0)
	s_movk_i32 s8, 0x7fff
	v_add3_u32 v20, v4, v0, s8
.LBB5_104:
	s_andn2_saveexec_b64 s[2:3], s[2:3]
; %bb.105:
	v_mov_b32_e32 v0, 0
	v_or_b32_e32 v1, 0x10000, v4
	v_cmp_eq_u32_sdwa vcc, v4, v0 src0_sel:WORD_0 src1_sel:DWORD
	s_nop 1
	v_cndmask_b32_e32 v20, v1, v4, vcc
; %bb.106:
	s_or_b64 exec, exec, s[2:3]
	s_mov_b32 s2, 0x7f800000
	v_and_b32_e32 v0, 0x7f800000, v5
	v_cmp_ne_u32_e32 vcc, s2, v0
                                        ; implicit-def: $vgpr21
	s_and_saveexec_b64 s[2:3], vcc
	s_xor_b64 s[2:3], exec, s[2:3]
	s_cbranch_execz .LBB5_108
; %bb.107:
	v_bfe_u32 v0, v5, 16, 1
	s_waitcnt lgkmcnt(0)
	s_movk_i32 s8, 0x7fff
	v_add3_u32 v21, v5, v0, s8
.LBB5_108:
	s_andn2_saveexec_b64 s[2:3], s[2:3]
; %bb.109:
	v_mov_b32_e32 v0, 0
	v_or_b32_e32 v1, 0x10000, v5
	v_cmp_eq_u32_sdwa vcc, v5, v0 src0_sel:WORD_0 src1_sel:DWORD
	s_nop 1
	v_cndmask_b32_e32 v21, v1, v5, vcc
; %bb.110:
	s_or_b64 exec, exec, s[2:3]
	s_mov_b32 s2, 0x7f800000
	v_and_b32_e32 v0, 0x7f800000, v6
	v_cmp_ne_u32_e32 vcc, s2, v0
                                        ; implicit-def: $vgpr22
	s_and_saveexec_b64 s[2:3], vcc
	s_xor_b64 s[2:3], exec, s[2:3]
	s_cbranch_execz .LBB5_112
; %bb.111:
	v_bfe_u32 v0, v6, 16, 1
	s_waitcnt lgkmcnt(0)
	s_movk_i32 s8, 0x7fff
	v_add3_u32 v22, v6, v0, s8
.LBB5_112:
	s_andn2_saveexec_b64 s[2:3], s[2:3]
; %bb.113:
	v_mov_b32_e32 v0, 0
	v_or_b32_e32 v1, 0x10000, v6
	v_cmp_eq_u32_sdwa vcc, v6, v0 src0_sel:WORD_0 src1_sel:DWORD
	s_nop 1
	v_cndmask_b32_e32 v22, v1, v6, vcc
; %bb.114:
	s_or_b64 exec, exec, s[2:3]
	s_mov_b32 s2, 0x7f800000
	v_and_b32_e32 v0, 0x7f800000, v7
	v_cmp_ne_u32_e32 vcc, s2, v0
                                        ; implicit-def: $vgpr23
	s_and_saveexec_b64 s[2:3], vcc
	s_xor_b64 s[2:3], exec, s[2:3]
	s_cbranch_execz .LBB5_116
; %bb.115:
	v_bfe_u32 v0, v7, 16, 1
	s_waitcnt lgkmcnt(0)
	s_movk_i32 s8, 0x7fff
	v_add3_u32 v23, v7, v0, s8
.LBB5_116:
	s_andn2_saveexec_b64 s[2:3], s[2:3]
; %bb.117:
	v_mov_b32_e32 v0, 0
	v_or_b32_e32 v1, 0x10000, v7
	v_cmp_eq_u32_sdwa vcc, v7, v0 src0_sel:WORD_0 src1_sel:DWORD
	s_nop 1
	v_cndmask_b32_e32 v23, v1, v7, vcc
; %bb.118:
	s_or_b64 exec, exec, s[2:3]
	s_mov_b32 s2, 0x7f800000
	v_and_b32_e32 v0, 0x7f800000, v8
	v_cmp_ne_u32_e32 vcc, s2, v0
                                        ; implicit-def: $vgpr24
	s_and_saveexec_b64 s[2:3], vcc
	s_xor_b64 s[2:3], exec, s[2:3]
	s_cbranch_execz .LBB5_120
; %bb.119:
	v_bfe_u32 v0, v8, 16, 1
	s_waitcnt lgkmcnt(0)
	s_movk_i32 s8, 0x7fff
	v_add3_u32 v24, v8, v0, s8
.LBB5_120:
	s_andn2_saveexec_b64 s[2:3], s[2:3]
; %bb.121:
	v_mov_b32_e32 v0, 0
	v_or_b32_e32 v1, 0x10000, v8
	v_cmp_eq_u32_sdwa vcc, v8, v0 src0_sel:WORD_0 src1_sel:DWORD
	s_nop 1
	v_cndmask_b32_e32 v24, v1, v8, vcc
; %bb.122:
	s_or_b64 exec, exec, s[2:3]
	s_mov_b32 s2, 0x7f800000
	v_and_b32_e32 v0, 0x7f800000, v9
	v_cmp_ne_u32_e32 vcc, s2, v0
                                        ; implicit-def: $vgpr25
	s_and_saveexec_b64 s[2:3], vcc
	s_xor_b64 s[2:3], exec, s[2:3]
	s_cbranch_execz .LBB5_124
; %bb.123:
	v_bfe_u32 v0, v9, 16, 1
	s_waitcnt lgkmcnt(0)
	s_movk_i32 s8, 0x7fff
	v_add3_u32 v25, v9, v0, s8
.LBB5_124:
	s_andn2_saveexec_b64 s[2:3], s[2:3]
; %bb.125:
	v_mov_b32_e32 v0, 0
	v_or_b32_e32 v1, 0x10000, v9
	v_cmp_eq_u32_sdwa vcc, v9, v0 src0_sel:WORD_0 src1_sel:DWORD
	s_nop 1
	v_cndmask_b32_e32 v25, v1, v9, vcc
; %bb.126:
	s_or_b64 exec, exec, s[2:3]
	s_mov_b32 s2, 0x7f800000
	v_and_b32_e32 v0, 0x7f800000, v10
	v_cmp_ne_u32_e32 vcc, s2, v0
                                        ; implicit-def: $vgpr26
	s_and_saveexec_b64 s[2:3], vcc
	s_xor_b64 s[2:3], exec, s[2:3]
	s_cbranch_execz .LBB5_128
; %bb.127:
	v_bfe_u32 v0, v10, 16, 1
	s_waitcnt lgkmcnt(0)
	s_movk_i32 s8, 0x7fff
	v_add3_u32 v26, v10, v0, s8
.LBB5_128:
	s_andn2_saveexec_b64 s[2:3], s[2:3]
; %bb.129:
	v_mov_b32_e32 v0, 0
	v_or_b32_e32 v1, 0x10000, v10
	v_cmp_eq_u32_sdwa vcc, v10, v0 src0_sel:WORD_0 src1_sel:DWORD
	s_nop 1
	v_cndmask_b32_e32 v26, v1, v10, vcc
; %bb.130:
	s_or_b64 exec, exec, s[2:3]
	s_mov_b32 s2, 0x7f800000
	v_and_b32_e32 v0, 0x7f800000, v11
	v_cmp_ne_u32_e32 vcc, s2, v0
                                        ; implicit-def: $vgpr27
	s_and_saveexec_b64 s[2:3], vcc
	s_xor_b64 s[2:3], exec, s[2:3]
	s_cbranch_execz .LBB5_132
; %bb.131:
	v_bfe_u32 v0, v11, 16, 1
	s_waitcnt lgkmcnt(0)
	s_movk_i32 s8, 0x7fff
	v_add3_u32 v27, v11, v0, s8
.LBB5_132:
	s_andn2_saveexec_b64 s[2:3], s[2:3]
; %bb.133:
	v_mov_b32_e32 v0, 0
	v_or_b32_e32 v1, 0x10000, v11
	v_cmp_eq_u32_sdwa vcc, v11, v0 src0_sel:WORD_0 src1_sel:DWORD
	s_nop 1
	v_cndmask_b32_e32 v27, v1, v11, vcc
; %bb.134:
	s_or_b64 exec, exec, s[2:3]
	s_mov_b32 s2, 0x7f800000
	v_and_b32_e32 v0, 0x7f800000, v12
	v_cmp_ne_u32_e32 vcc, s2, v0
                                        ; implicit-def: $vgpr28
	s_and_saveexec_b64 s[2:3], vcc
	s_xor_b64 s[2:3], exec, s[2:3]
	s_cbranch_execz .LBB5_136
; %bb.135:
	v_bfe_u32 v0, v12, 16, 1
	s_waitcnt lgkmcnt(0)
	s_movk_i32 s8, 0x7fff
	v_add3_u32 v28, v12, v0, s8
.LBB5_136:
	s_andn2_saveexec_b64 s[2:3], s[2:3]
; %bb.137:
	v_mov_b32_e32 v0, 0
	v_or_b32_e32 v1, 0x10000, v12
	v_cmp_eq_u32_sdwa vcc, v12, v0 src0_sel:WORD_0 src1_sel:DWORD
	s_nop 1
	v_cndmask_b32_e32 v28, v1, v12, vcc
; %bb.138:
	s_or_b64 exec, exec, s[2:3]
	s_mov_b32 s2, 0x7f800000
	v_and_b32_e32 v0, 0x7f800000, v13
	v_cmp_ne_u32_e32 vcc, s2, v0
                                        ; implicit-def: $vgpr29
	s_and_saveexec_b64 s[2:3], vcc
	s_xor_b64 s[2:3], exec, s[2:3]
	s_cbranch_execz .LBB5_140
; %bb.139:
	v_bfe_u32 v0, v13, 16, 1
	s_waitcnt lgkmcnt(0)
	s_movk_i32 s8, 0x7fff
	v_add3_u32 v29, v13, v0, s8
.LBB5_140:
	s_andn2_saveexec_b64 s[2:3], s[2:3]
; %bb.141:
	v_mov_b32_e32 v0, 0
	v_or_b32_e32 v1, 0x10000, v13
	v_cmp_eq_u32_sdwa vcc, v13, v0 src0_sel:WORD_0 src1_sel:DWORD
	s_nop 1
	v_cndmask_b32_e32 v29, v1, v13, vcc
; %bb.142:
	s_or_b64 exec, exec, s[2:3]
	s_mov_b32 s2, 0x7f800000
	v_and_b32_e32 v0, 0x7f800000, v14
	v_cmp_ne_u32_e32 vcc, s2, v0
                                        ; implicit-def: $vgpr30
	s_and_saveexec_b64 s[2:3], vcc
	s_xor_b64 s[2:3], exec, s[2:3]
	s_cbranch_execz .LBB5_144
; %bb.143:
	v_bfe_u32 v0, v14, 16, 1
	s_waitcnt lgkmcnt(0)
	s_movk_i32 s8, 0x7fff
	v_add3_u32 v30, v14, v0, s8
.LBB5_144:
	s_andn2_saveexec_b64 s[2:3], s[2:3]
; %bb.145:
	v_mov_b32_e32 v0, 0
	v_or_b32_e32 v1, 0x10000, v14
	v_cmp_eq_u32_sdwa vcc, v14, v0 src0_sel:WORD_0 src1_sel:DWORD
	s_nop 1
	v_cndmask_b32_e32 v30, v1, v14, vcc
; %bb.146:
	s_or_b64 exec, exec, s[2:3]
	s_mov_b32 s2, 0x7f800000
	v_and_b32_e32 v0, 0x7f800000, v15
	v_cmp_ne_u32_e32 vcc, s2, v0
                                        ; implicit-def: $vgpr31
	s_and_saveexec_b64 s[2:3], vcc
	s_xor_b64 s[2:3], exec, s[2:3]
	s_cbranch_execz .LBB5_148
; %bb.147:
	v_bfe_u32 v0, v15, 16, 1
	s_waitcnt lgkmcnt(0)
	s_movk_i32 s8, 0x7fff
	v_add3_u32 v31, v15, v0, s8
                                        ; implicit-def: $vgpr0_vgpr1_vgpr2_vgpr3_vgpr4_vgpr5_vgpr6_vgpr7_vgpr8_vgpr9_vgpr10_vgpr11_vgpr12_vgpr13_vgpr14_vgpr15
.LBB5_148:
	s_andn2_saveexec_b64 s[2:3], s[2:3]
; %bb.149:
	v_mov_b32_e32 v0, 0
	v_or_b32_e32 v1, 0x10000, v15
	v_cmp_eq_u32_sdwa vcc, v15, v0 src0_sel:WORD_0 src1_sel:DWORD
	s_nop 1
	v_cndmask_b32_e32 v31, v1, v15, vcc
; %bb.150:
	s_or_b64 exec, exec, s[2:3]
	v_ashrrev_i32_e32 v35, 31, v34
	v_lshlrev_b64 v[0:1], 13, v[32:33]
	s_waitcnt lgkmcnt(0)
	v_lshl_add_u64 v[0:1], s[4:5], 0, v[0:1]
	v_lshlrev_b64 v[2:3], 10, v[34:35]
	v_lshl_add_u64 v[0:1], v[0:1], 0, v[2:3]
	v_lshlrev_b32_e32 v2, 1, v36
	v_mov_b32_e32 v3, 0
	s_mov_b32 s2, 0x7060302
	v_lshl_add_u64 v[4:5], v[0:1], 0, v[2:3]
	v_perm_b32 v3, v23, v22, s2
	v_perm_b32 v2, v21, v20, s2
	;; [unrolled: 1-line block ×4, first 2 shown]
	global_store_dwordx4 v[4:5], v[0:3], off
	s_nop 1
	v_perm_b32 v3, v31, v30, s2
	v_perm_b32 v2, v29, v28, s2
	;; [unrolled: 1-line block ×4, first 2 shown]
	global_store_dwordx4 v[4:5], v[0:3], off offset:16
.LBB5_151:
	s_or_b64 exec, exec, s[0:1]
                                        ; implicit-def: $vgpr32
                                        ; implicit-def: $vgpr34
                                        ; implicit-def: $vgpr36
.LBB5_152:
	s_andn2_saveexec_b64 s[0:1], s[6:7]
	s_cbranch_execz .LBB5_154
; %bb.153:
	v_ashrrev_i32_e32 v35, 31, v34
	v_lshlrev_b64 v[0:1], 13, v[32:33]
	s_waitcnt lgkmcnt(0)
	v_lshl_add_u64 v[0:1], s[4:5], 0, v[0:1]
	v_lshlrev_b64 v[2:3], 10, v[34:35]
	s_mov_b32 s0, 0
	v_lshl_add_u64 v[0:1], v[0:1], 0, v[2:3]
	v_lshlrev_b32_e32 v2, 1, v36
	v_mov_b32_e32 v3, 0
	s_mov_b32 s1, s0
	v_lshl_add_u64 v[4:5], v[0:1], 0, v[2:3]
	s_mov_b32 s2, s0
	s_mov_b32 s3, s0
	v_mov_b64_e32 v[0:1], s[0:1]
	v_mov_b64_e32 v[2:3], s[2:3]
	global_store_dwordx4 v[4:5], v[0:3], off
	global_store_dwordx4 v[4:5], v[0:3], off offset:16
.LBB5_154:
	s_endpgm
.LBB5_155:
	v_bfe_u32 v0, v15, 16, 1
	s_movk_i32 s14, 0x7fff
	v_add3_u32 v35, v15, v0, s14
                                        ; implicit-def: $vgpr0_vgpr1_vgpr2_vgpr3_vgpr4_vgpr5_vgpr6_vgpr7_vgpr8_vgpr9_vgpr10_vgpr11_vgpr12_vgpr13_vgpr14_vgpr15
	s_andn2_saveexec_b64 s[2:3], s[2:3]
	s_cbranch_execz .LBB5_82
.LBB5_156:
	v_mov_b32_e32 v0, 0
	v_or_b32_e32 v1, 0x10000, v15
	v_cmp_eq_u32_sdwa vcc, v15, v0 src0_sel:WORD_0 src1_sel:DWORD
	s_nop 1
	v_cndmask_b32_e32 v35, v1, v15, vcc
	s_or_b64 exec, exec, s[2:3]
	s_and_saveexec_b64 s[2:3], s[0:1]
	s_xor_b64 s[0:1], exec, s[2:3]
	s_cbranch_execz .LBB5_83
.LBB5_157:
	s_trap 2
	; divergent unreachable
                                        ; implicit-def: $vgpr36
                                        ; implicit-def: $vgpr16_vgpr17
                                        ; implicit-def: $vgpr18_vgpr19
                                        ; implicit-def: $vgpr20
                                        ; implicit-def: $vgpr21
                                        ; implicit-def: $vgpr22
                                        ; implicit-def: $vgpr23
                                        ; implicit-def: $vgpr24
                                        ; implicit-def: $vgpr25
                                        ; implicit-def: $vgpr26
                                        ; implicit-def: $vgpr27
                                        ; implicit-def: $vgpr28
                                        ; implicit-def: $vgpr29
                                        ; implicit-def: $vgpr30
                                        ; implicit-def: $vgpr31
                                        ; implicit-def: $vgpr32
                                        ; implicit-def: $vgpr33
                                        ; implicit-def: $vgpr34
                                        ; implicit-def: $vgpr35
	s_andn2_saveexec_b64 s[0:1], s[0:1]
	s_cbranch_execnz .LBB5_84
	s_branch .LBB5_85
	.section	.rodata,"a",@progbits
	.p2align	6, 0x0
	.amdhsa_kernel _ZN4vllm21deepseek_v4_fused_ops47fusedDeepseekV4QNormRopeKVRopeQuantInsertKernelIN3c108BFloat16ELi8EEEvPKT_PS4_S6_PhPKlSA_PKffiiiii
		.amdhsa_group_segment_fixed_size 0
		.amdhsa_private_segment_fixed_size 0
		.amdhsa_kernarg_size 336
		.amdhsa_user_sgpr_count 2
		.amdhsa_user_sgpr_dispatch_ptr 0
		.amdhsa_user_sgpr_queue_ptr 0
		.amdhsa_user_sgpr_kernarg_segment_ptr 1
		.amdhsa_user_sgpr_dispatch_id 0
		.amdhsa_user_sgpr_kernarg_preload_length 0
		.amdhsa_user_sgpr_kernarg_preload_offset 0
		.amdhsa_user_sgpr_private_segment_size 0
		.amdhsa_uses_dynamic_stack 0
		.amdhsa_enable_private_segment 0
		.amdhsa_system_sgpr_workgroup_id_x 1
		.amdhsa_system_sgpr_workgroup_id_y 0
		.amdhsa_system_sgpr_workgroup_id_z 0
		.amdhsa_system_sgpr_workgroup_info 0
		.amdhsa_system_vgpr_workitem_id 0
		.amdhsa_next_free_vgpr 46
		.amdhsa_next_free_sgpr 24
		.amdhsa_accum_offset 48
		.amdhsa_reserve_vcc 1
		.amdhsa_float_round_mode_32 0
		.amdhsa_float_round_mode_16_64 0
		.amdhsa_float_denorm_mode_32 3
		.amdhsa_float_denorm_mode_16_64 3
		.amdhsa_dx10_clamp 1
		.amdhsa_ieee_mode 1
		.amdhsa_fp16_overflow 0
		.amdhsa_tg_split 0
		.amdhsa_exception_fp_ieee_invalid_op 0
		.amdhsa_exception_fp_denorm_src 0
		.amdhsa_exception_fp_ieee_div_zero 0
		.amdhsa_exception_fp_ieee_overflow 0
		.amdhsa_exception_fp_ieee_underflow 0
		.amdhsa_exception_fp_ieee_inexact 0
		.amdhsa_exception_int_div_zero 0
	.end_amdhsa_kernel
	.section	.text._ZN4vllm21deepseek_v4_fused_ops47fusedDeepseekV4QNormRopeKVRopeQuantInsertKernelIN3c108BFloat16ELi8EEEvPKT_PS4_S6_PhPKlSA_PKffiiiii,"axG",@progbits,_ZN4vllm21deepseek_v4_fused_ops47fusedDeepseekV4QNormRopeKVRopeQuantInsertKernelIN3c108BFloat16ELi8EEEvPKT_PS4_S6_PhPKlSA_PKffiiiii,comdat
.Lfunc_end5:
	.size	_ZN4vllm21deepseek_v4_fused_ops47fusedDeepseekV4QNormRopeKVRopeQuantInsertKernelIN3c108BFloat16ELi8EEEvPKT_PS4_S6_PhPKlSA_PKffiiiii, .Lfunc_end5-_ZN4vllm21deepseek_v4_fused_ops47fusedDeepseekV4QNormRopeKVRopeQuantInsertKernelIN3c108BFloat16ELi8EEEvPKT_PS4_S6_PhPKlSA_PKffiiiii
                                        ; -- End function
	.section	.AMDGPU.csdata,"",@progbits
; Kernel info:
; codeLenInByte = 5676
; NumSgprs: 30
; NumVgprs: 46
; NumAgprs: 0
; TotalNumVgprs: 46
; ScratchSize: 0
; MemoryBound: 1
; FloatMode: 240
; IeeeMode: 1
; LDSByteSize: 0 bytes/workgroup (compile time only)
; SGPRBlocks: 3
; VGPRBlocks: 5
; NumSGPRsForWavesPerEU: 30
; NumVGPRsForWavesPerEU: 46
; AccumOffset: 48
; Occupancy: 8
; WaveLimiterHint : 1
; COMPUTE_PGM_RSRC2:SCRATCH_EN: 0
; COMPUTE_PGM_RSRC2:USER_SGPR: 2
; COMPUTE_PGM_RSRC2:TRAP_HANDLER: 0
; COMPUTE_PGM_RSRC2:TGID_X_EN: 1
; COMPUTE_PGM_RSRC2:TGID_Y_EN: 0
; COMPUTE_PGM_RSRC2:TGID_Z_EN: 0
; COMPUTE_PGM_RSRC2:TIDIG_COMP_CNT: 0
; COMPUTE_PGM_RSRC3_GFX90A:ACCUM_OFFSET: 11
; COMPUTE_PGM_RSRC3_GFX90A:TG_SPLIT: 0
	.section	.text._ZN4vllm21deepseek_v4_fused_ops47fusedDeepseekV4QNormRopeKVRopeQuantInsertKernelIN3c108BFloat16ELi16EEEvPKT_PS4_S6_PhPKlSA_PKffiiiii,"axG",@progbits,_ZN4vllm21deepseek_v4_fused_ops47fusedDeepseekV4QNormRopeKVRopeQuantInsertKernelIN3c108BFloat16ELi16EEEvPKT_PS4_S6_PhPKlSA_PKffiiiii,comdat
	.protected	_ZN4vllm21deepseek_v4_fused_ops47fusedDeepseekV4QNormRopeKVRopeQuantInsertKernelIN3c108BFloat16ELi16EEEvPKT_PS4_S6_PhPKlSA_PKffiiiii ; -- Begin function _ZN4vllm21deepseek_v4_fused_ops47fusedDeepseekV4QNormRopeKVRopeQuantInsertKernelIN3c108BFloat16ELi16EEEvPKT_PS4_S6_PhPKlSA_PKffiiiii
	.globl	_ZN4vllm21deepseek_v4_fused_ops47fusedDeepseekV4QNormRopeKVRopeQuantInsertKernelIN3c108BFloat16ELi16EEEvPKT_PS4_S6_PhPKlSA_PKffiiiii
	.p2align	8
	.type	_ZN4vllm21deepseek_v4_fused_ops47fusedDeepseekV4QNormRopeKVRopeQuantInsertKernelIN3c108BFloat16ELi16EEEvPKT_PS4_S6_PhPKlSA_PKffiiiii,@function
_ZN4vllm21deepseek_v4_fused_ops47fusedDeepseekV4QNormRopeKVRopeQuantInsertKernelIN3c108BFloat16ELi16EEEvPKT_PS4_S6_PhPKlSA_PKffiiiii: ; @_ZN4vllm21deepseek_v4_fused_ops47fusedDeepseekV4QNormRopeKVRopeQuantInsertKernelIN3c108BFloat16ELi16EEEvPKT_PS4_S6_PhPKlSA_PKffiiiii
; %bb.0:
	s_load_dword s3, s[0:1], 0x5c
	s_load_dwordx4 s[12:15], s[0:1], 0x38
	v_lshrrev_b32_e32 v1, 5, v0
	s_waitcnt lgkmcnt(0)
	s_bfe_u32 s3, s3, 0xb0005
	s_mul_i32 s2, s2, s3
	v_add_u32_e32 v1, s2, v1
	s_mov_b32 s2, 0x78787879
	v_mul_hi_i32 v2, v1, s2
	v_lshrrev_b32_e32 v3, 31, v2
	v_ashrrev_i32_e32 v2, 3, v2
	v_add_u32_e32 v32, v2, v3
	v_cmp_gt_i32_e32 vcc, s13, v32
	s_and_saveexec_b64 s[2:3], vcc
	s_cbranch_execz .LBB6_154
; %bb.1:
	s_load_dwordx2 s[16:17], s[0:1], 0x48
	v_lshl_add_u32 v2, v32, 4, v32
	v_sub_u32_e32 v34, v1, v2
	v_cmp_ne_u32_e64 s[2:3], 16, v34
	v_cmp_gt_i32_e64 s[4:5], s14, v32
	v_cmp_eq_u32_e32 vcc, 16, v34
	s_or_b64 s[4:5], s[2:3], s[4:5]
	s_and_b64 exec, exec, s[4:5]
	s_cbranch_execz .LBB6_154
; %bb.2:
	s_load_dwordx4 s[8:11], s[0:1], 0x18
	s_load_dwordx2 s[18:19], s[0:1], 0x28
	v_cmp_gt_i32_e64 s[4:5], s15, v34
	s_xor_b64 s[6:7], s[2:3], -1
	v_lshlrev_b32_e32 v0, 4, v0
	s_or_b64 s[6:7], s[6:7], s[4:5]
	v_and_b32_e32 v36, 0x1f0, v0
	v_ashrrev_i32_e32 v33, 31, v32
                                        ; implicit-def: $vgpr9
                                        ; implicit-def: $vgpr17
	s_and_saveexec_b64 s[4:5], s[6:7]
	s_cbranch_execz .LBB6_8
; %bb.3:
                                        ; implicit-def: $vgpr0_vgpr1
	s_and_saveexec_b64 s[20:21], vcc
	s_xor_b64 s[20:21], exec, s[20:21]
	s_cbranch_execz .LBB6_5
; %bb.4:
	s_load_dwordx2 s[22:23], s[0:1], 0x10
	v_lshlrev_b64 v[0:1], 10, v[32:33]
	v_lshlrev_b32_e32 v2, 1, v36
	v_mov_b32_e32 v3, 0
	s_waitcnt lgkmcnt(0)
	v_lshl_add_u64 v[0:1], s[22:23], 0, v[0:1]
	v_lshl_add_u64 v[0:1], v[0:1], 0, v[2:3]
.LBB6_5:
	s_andn2_saveexec_b64 s[20:21], s[20:21]
	s_cbranch_execz .LBB6_7
; %bb.6:
	s_load_dwordx2 s[22:23], s[0:1], 0x0
	v_ashrrev_i32_e32 v35, 31, v34
	v_mad_i64_i32 v[0:1], s[14:15], v32, s15, v[34:35]
	v_lshlrev_b64 v[0:1], 10, v[0:1]
	v_lshl_or_b32 v0, v36, 1, v0
	s_waitcnt lgkmcnt(0)
	v_lshl_add_u64 v[0:1], s[22:23], 0, v[0:1]
.LBB6_7:
	s_or_b64 exec, exec, s[20:21]
	global_load_dwordx4 v[6:9], v[0:1], off
	global_load_dwordx4 v[14:17], v[0:1], off offset:16
.LBB6_8:
	s_or_b64 exec, exec, s[4:5]
	s_load_dwordx2 s[4:5], s[0:1], 0x8
	s_load_dwordx2 s[14:15], s[0:1], 0x30
	s_and_saveexec_b64 s[0:1], s[6:7]
	s_xor_b64 s[6:7], exec, s[0:1]
	s_cbranch_execz .LBB6_152
; %bb.9:
	s_waitcnt vmcnt(1)
	v_and_b32_e32 v1, 0xffff0000, v6
	v_lshlrev_b32_e32 v0, 16, v6
	v_and_b32_e32 v3, 0xffff0000, v7
	v_lshlrev_b32_e32 v2, 16, v7
	;; [unrolled: 2-line block ×4, first 2 shown]
	s_waitcnt vmcnt(0)
	v_and_b32_e32 v9, 0xffff0000, v14
	v_lshlrev_b32_e32 v8, 16, v14
	v_and_b32_e32 v11, 0xffff0000, v15
	v_lshlrev_b32_e32 v10, 16, v15
	;; [unrolled: 2-line block ×4, first 2 shown]
	s_and_saveexec_b64 s[20:21], s[2:3]
	s_cbranch_execz .LBB6_11
; %bb.10:
	v_pk_mul_f32 v[16:17], v[0:1], v[0:1]
	v_pk_mul_f32 v[18:19], v[2:3], v[2:3]
	v_add_f32_e32 v16, v16, v17
	v_add_f32_e32 v16, v18, v16
	v_pk_mul_f32 v[20:21], v[4:5], v[4:5]
	v_add_f32_e32 v16, v19, v16
	v_add_f32_e32 v16, v20, v16
	;; [unrolled: 3-line block ×4, first 2 shown]
	v_pk_mul_f32 v[26:27], v[10:11], v[10:11]
	v_add_f32_e32 v16, v25, v16
	v_mbcnt_lo_u32_b32 v17, -1, 0
	v_add_f32_e32 v16, v26, v16
	v_mbcnt_hi_u32_b32 v17, -1, v17
	v_pk_mul_f32 v[28:29], v[12:13], v[12:13]
	v_add_f32_e32 v16, v27, v16
	v_and_b32_e32 v18, 0x60, v17
	v_add_f32_e32 v16, v28, v16
	v_add_u32_e32 v18, 32, v18
	v_xor_b32_e32 v19, 16, v17
	v_pk_mul_f32 v[30:31], v[14:15], v[14:15]
	v_add_f32_e32 v16, v29, v16
	v_cmp_lt_i32_e64 s[0:1], v19, v18
	v_add_f32_e32 v16, v30, v16
	v_add_f32_e32 v16, v31, v16
	v_cndmask_b32_e64 v19, v17, v19, s[0:1]
	v_lshlrev_b32_e32 v19, 2, v19
	ds_bpermute_b32 v19, v19, v16
	s_waitcnt lgkmcnt(0)
	v_add_f32_e32 v16, v16, v19
	v_xor_b32_e32 v19, 8, v17
	v_cmp_lt_i32_e64 s[0:1], v19, v18
	s_nop 1
	v_cndmask_b32_e64 v19, v17, v19, s[0:1]
	v_lshlrev_b32_e32 v19, 2, v19
	ds_bpermute_b32 v19, v19, v16
	s_waitcnt lgkmcnt(0)
	v_add_f32_e32 v16, v16, v19
	v_xor_b32_e32 v19, 4, v17
	v_cmp_lt_i32_e64 s[0:1], v19, v18
	s_nop 1
	;; [unrolled: 8-line block ×4, first 2 shown]
	v_cndmask_b32_e64 v17, v17, v19, s[0:1]
	v_lshlrev_b32_e32 v17, 2, v17
	ds_bpermute_b32 v17, v17, v16
	s_mov_b32 s0, 0x800000
	s_waitcnt lgkmcnt(0)
	v_add_f32_e32 v16, v16, v17
	v_mov_b32_e32 v17, s12
	v_fmamk_f32 v16, v16, 0x3b000000, v17
	v_mul_f32_e32 v17, 0x4b800000, v16
	v_cmp_gt_f32_e64 s[0:1], s0, v16
	s_nop 1
	v_cndmask_b32_e64 v16, v16, v17, s[0:1]
	v_rsq_f32_e32 v16, v16
	s_nop 0
	v_mul_f32_e32 v17, 0x45800000, v16
	v_cndmask_b32_e64 v16, v16, v17, s[0:1]
	v_pk_mul_f32 v[14:15], v[16:17], v[14:15] op_sel_hi:[0,1]
	v_pk_mul_f32 v[12:13], v[16:17], v[12:13] op_sel_hi:[0,1]
	v_pk_mul_f32 v[10:11], v[16:17], v[10:11] op_sel_hi:[0,1]
	v_pk_mul_f32 v[8:9], v[16:17], v[8:9] op_sel_hi:[0,1]
	v_pk_mul_f32 v[6:7], v[16:17], v[6:7] op_sel_hi:[0,1]
	v_pk_mul_f32 v[4:5], v[16:17], v[4:5] op_sel_hi:[0,1]
	v_pk_mul_f32 v[2:3], v[16:17], v[2:3] op_sel_hi:[0,1]
	v_pk_mul_f32 v[0:1], v[16:17], v[0:1] op_sel_hi:[0,1]
.LBB6_11:
	s_or_b64 exec, exec, s[20:21]
	s_movk_i32 s0, 0x1c0
	s_movk_i32 s2, 0x1bf
	v_cmp_gt_u32_e64 s[0:1], s0, v36
	v_cmp_lt_u32_e64 s[2:3], s2, v36
	s_and_saveexec_b64 s[12:13], s[2:3]
	s_cbranch_execnz .LBB6_14
; %bb.12:
	s_or_b64 exec, exec, s[12:13]
	s_and_saveexec_b64 s[2:3], vcc
	s_xor_b64 s[12:13], exec, s[2:3]
	s_cbranch_execnz .LBB6_15
.LBB6_13:
	s_andn2_saveexec_b64 s[0:1], s[12:13]
	s_cbranch_execnz .LBB6_86
	s_branch .LBB6_151
.LBB6_14:
	s_waitcnt lgkmcnt(0)
	v_lshl_add_u64 v[16:17], v[32:33], 3, s[18:19]
	global_load_dwordx2 v[16:17], v[16:17], off
	v_add_u32_e32 v18, 0xfffffe40, v36
	v_mov_b32_e32 v19, 0
	v_lshrrev_b32_e32 v18, 1, v18
	s_waitcnt vmcnt(0)
	v_lshlrev_b64 v[16:17], 8, v[16:17]
	v_lshl_add_u64 v[16:17], s[14:15], 0, v[16:17]
	v_lshl_add_u64 v[16:17], v[18:19], 2, v[16:17]
	global_load_dwordx4 v[20:23], v[16:17], off offset:128
	global_load_dwordx4 v[28:31], v[16:17], off offset:144
	global_load_dwordx4 v[38:41], v[16:17], off
	global_load_dwordx4 v[42:45], v[16:17], off offset:16
	s_waitcnt vmcnt(3)
	v_mul_f32_e32 v16, v1, v20
	v_mul_f32_e32 v17, v0, v20
	;; [unrolled: 1-line block ×8, first 2 shown]
	s_waitcnt vmcnt(2)
	v_mul_f32_e32 v24, v9, v28
	v_mul_f32_e32 v25, v8, v28
	;; [unrolled: 1-line block ×8, first 2 shown]
	s_waitcnt vmcnt(1)
	v_fma_f32 v16, v0, v38, -v16
	v_fmac_f32_e32 v17, v1, v38
	v_fma_f32 v18, v2, v39, -v18
	v_fmac_f32_e32 v19, v3, v39
	;; [unrolled: 2-line block ×4, first 2 shown]
	s_waitcnt vmcnt(0)
	v_fma_f32 v24, v8, v42, -v24
	v_fmac_f32_e32 v25, v9, v42
	v_fma_f32 v26, v10, v43, -v26
	v_fmac_f32_e32 v27, v11, v43
	;; [unrolled: 2-line block ×4, first 2 shown]
	v_mov_b64_e32 v[0:1], v[16:17]
	v_mov_b64_e32 v[2:3], v[18:19]
	;; [unrolled: 1-line block ×8, first 2 shown]
	s_or_b64 exec, exec, s[12:13]
	s_and_saveexec_b64 s[2:3], vcc
	s_xor_b64 s[12:13], exec, s[2:3]
	s_cbranch_execz .LBB6_13
.LBB6_15:
	s_waitcnt lgkmcnt(0)
	v_lshl_add_u64 v[16:17], v[32:33], 3, s[10:11]
	global_load_dwordx2 v[16:17], v[16:17], off
	s_waitcnt vmcnt(0)
	v_cmp_lt_i64_e32 vcc, -1, v[16:17]
	s_and_saveexec_b64 s[10:11], vcc
	s_cbranch_execz .LBB6_85
; %bb.16:
	s_ashr_i32 s22, s16, 31
	v_or_b32_e32 v21, s22, v17
	v_mov_b32_e32 v20, 0
	v_cmp_ne_u64_e32 vcc, 0, v[20:21]
                                        ; implicit-def: $vgpr18_vgpr19
	s_and_saveexec_b64 s[2:3], vcc
	s_xor_b64 s[14:15], exec, s[2:3]
	s_cbranch_execz .LBB6_18
; %bb.17:
	s_add_u32 s2, s16, s22
	s_mov_b32 s18, s22
	s_mov_b32 s19, s22
	s_addc_u32 s3, s22, s22
	s_xor_b64 s[20:21], s[2:3], s[18:19]
	v_cvt_f32_u32_e32 v18, s20
	v_cvt_f32_u32_e32 v19, s21
	s_sub_u32 s2, 0, s20
	s_subb_u32 s3, 0, s21
	v_mov_b32_e32 v23, v20
	v_fmamk_f32 v18, v19, 0x4f800000, v18
	v_rcp_f32_e32 v18, v18
	s_nop 0
	v_mul_f32_e32 v18, 0x5f7ffffc, v18
	v_mul_f32_e32 v19, 0x2f800000, v18
	v_trunc_f32_e32 v19, v19
	v_fmamk_f32 v18, v19, 0xcf800000, v18
	v_cvt_u32_f32_e32 v21, v19
	v_cvt_u32_f32_e32 v24, v18
	v_mul_lo_u32 v18, s2, v21
	v_mul_hi_u32 v22, s2, v24
	v_mul_lo_u32 v19, s3, v24
	v_add_u32_e32 v18, v22, v18
	v_mul_lo_u32 v25, s2, v24
	v_add_u32_e32 v26, v18, v19
	v_mul_hi_u32 v19, v24, v26
	v_mul_lo_u32 v18, v24, v26
	v_mul_hi_u32 v22, v24, v25
	v_lshl_add_u64 v[18:19], v[22:23], 0, v[18:19]
	v_mul_hi_u32 v23, v21, v25
	v_mul_lo_u32 v25, v21, v25
	v_add_co_u32_e32 v18, vcc, v18, v25
	v_mul_hi_u32 v22, v21, v26
	s_nop 0
	v_addc_co_u32_e32 v18, vcc, v19, v23, vcc
	v_mov_b32_e32 v19, v20
	s_nop 0
	v_addc_co_u32_e32 v23, vcc, 0, v22, vcc
	v_mul_lo_u32 v22, v21, v26
	v_lshl_add_u64 v[18:19], v[18:19], 0, v[22:23]
	v_add_co_u32_e32 v24, vcc, v24, v18
	v_mul_lo_u32 v22, s2, v24
	s_nop 0
	v_addc_co_u32_e32 v21, vcc, v21, v19, vcc
	v_mul_lo_u32 v18, s2, v21
	v_mul_hi_u32 v19, s2, v24
	v_add_u32_e32 v18, v19, v18
	v_mul_lo_u32 v19, s3, v24
	v_add_u32_e32 v25, v18, v19
	v_mul_hi_u32 v27, v21, v22
	v_mul_lo_u32 v28, v21, v22
	v_mul_hi_u32 v19, v24, v25
	v_mul_lo_u32 v18, v24, v25
	v_mul_hi_u32 v22, v24, v22
	v_mov_b32_e32 v23, v20
	v_lshl_add_u64 v[18:19], v[22:23], 0, v[18:19]
	v_add_co_u32_e32 v18, vcc, v18, v28
	v_mul_hi_u32 v26, v21, v25
	s_nop 0
	v_addc_co_u32_e32 v18, vcc, v19, v27, vcc
	v_mul_lo_u32 v22, v21, v25
	s_nop 0
	v_addc_co_u32_e32 v23, vcc, 0, v26, vcc
	v_mov_b32_e32 v19, v20
	v_lshl_add_u64 v[18:19], v[18:19], 0, v[22:23]
	v_add_co_u32_e32 v26, vcc, v24, v18
	v_ashrrev_i32_e32 v18, 31, v17
	s_nop 0
	v_addc_co_u32_e32 v21, vcc, v21, v19, vcc
	v_mov_b32_e32 v19, v18
	v_lshl_add_u64 v[22:23], v[16:17], 0, v[18:19]
	v_xor_b32_e32 v28, v22, v18
	v_xor_b32_e32 v19, v23, v18
	v_mad_u64_u32 v[22:23], s[2:3], v28, v21, 0
	v_mul_hi_u32 v24, v28, v26
	v_mov_b32_e32 v25, v20
	v_lshl_add_u64 v[22:23], v[24:25], 0, v[22:23]
	v_mad_u64_u32 v[26:27], s[2:3], v19, v26, 0
	v_mad_u64_u32 v[24:25], s[2:3], v19, v21, 0
	v_add_co_u32_e32 v21, vcc, v22, v26
	s_nop 1
	v_addc_co_u32_e32 v22, vcc, v23, v27, vcc
	v_mov_b32_e32 v23, v20
	s_nop 0
	v_addc_co_u32_e32 v25, vcc, 0, v25, vcc
	v_lshl_add_u64 v[20:21], v[22:23], 0, v[24:25]
	v_mul_lo_u32 v24, s21, v20
	v_mul_lo_u32 v25, s20, v21
	v_mad_u64_u32 v[22:23], s[2:3], s20, v20, 0
	v_add3_u32 v26, v23, v25, v24
	v_sub_u32_e32 v23, v19, v26
	v_mov_b32_e32 v24, s21
	v_sub_co_u32_e32 v27, vcc, v28, v22
	s_nop 1
	v_subb_co_u32_e64 v22, s[2:3], v23, v24, vcc
	v_subrev_co_u32_e64 v23, s[2:3], s20, v27
	v_subb_co_u32_e32 v19, vcc, v19, v26, vcc
	s_nop 0
	v_subbrev_co_u32_e64 v22, s[2:3], 0, v22, s[2:3]
	v_cmp_le_u32_e64 s[2:3], s21, v22
	v_cmp_le_u32_e32 vcc, s21, v19
	s_nop 0
	v_cndmask_b32_e64 v24, 0, -1, s[2:3]
	v_cmp_le_u32_e64 s[2:3], s20, v23
	s_nop 1
	v_cndmask_b32_e64 v23, 0, -1, s[2:3]
	v_cmp_eq_u32_e64 s[2:3], s21, v22
	s_nop 1
	v_cndmask_b32_e64 v28, v24, v23, s[2:3]
	v_lshl_add_u64 v[22:23], v[20:21], 0, 2
	v_lshl_add_u64 v[24:25], v[20:21], 0, 1
	v_cmp_ne_u32_e64 s[2:3], 0, v28
	s_nop 1
	v_cndmask_b32_e64 v23, v25, v23, s[2:3]
	v_cndmask_b32_e64 v25, 0, -1, vcc
	v_cmp_le_u32_e32 vcc, s20, v27
	s_nop 1
	v_cndmask_b32_e64 v26, 0, -1, vcc
	v_cmp_eq_u32_e32 vcc, s21, v19
	s_nop 1
	v_cndmask_b32_e32 v19, v25, v26, vcc
	v_cmp_ne_u32_e32 vcc, 0, v19
	s_nop 1
	v_cndmask_b32_e32 v19, v21, v23, vcc
	v_cndmask_b32_e64 v21, v24, v22, s[2:3]
	v_cndmask_b32_e32 v20, v20, v21, vcc
	v_xor_b32_e32 v21, s19, v18
	v_xor_b32_e32 v18, s18, v18
	;; [unrolled: 1-line block ×4, first 2 shown]
	v_sub_co_u32_e32 v18, vcc, v20, v18
	s_nop 1
	v_subb_co_u32_e32 v19, vcc, v19, v21, vcc
.LBB6_18:
	s_andn2_saveexec_b64 s[2:3], s[14:15]
	s_cbranch_execz .LBB6_20
; %bb.19:
	v_cvt_f32_u32_e32 v18, s16
	s_sub_i32 s14, 0, s16
	v_rcp_iflag_f32_e32 v18, v18
	s_nop 0
	v_mul_f32_e32 v18, 0x4f7ffffe, v18
	v_cvt_u32_f32_e32 v18, v18
	v_mul_lo_u32 v19, s14, v18
	v_mul_hi_u32 v19, v18, v19
	v_add_u32_e32 v18, v18, v19
	v_mul_hi_u32 v18, v16, v18
	v_mul_lo_u32 v19, v18, s16
	v_sub_u32_e32 v19, v16, v19
	v_add_u32_e32 v20, 1, v18
	v_subrev_u32_e32 v21, s16, v19
	v_cmp_le_u32_e32 vcc, s16, v19
	s_nop 1
	v_cndmask_b32_e32 v19, v19, v21, vcc
	v_cndmask_b32_e32 v18, v18, v20, vcc
	v_add_u32_e32 v20, 1, v18
	v_cmp_le_u32_e32 vcc, s16, v19
	v_mov_b32_e32 v19, 0
	s_nop 0
	v_cndmask_b32_e32 v18, v18, v20, vcc
.LBB6_20:
	s_or_b64 exec, exec, s[2:3]
	s_mov_b32 s2, 0x7f800000
	v_and_b32_e32 v20, 0x7f800000, v0
	v_cmp_ne_u32_e32 vcc, s2, v20
                                        ; implicit-def: $vgpr20
	s_and_saveexec_b64 s[2:3], vcc
	s_xor_b64 s[2:3], exec, s[2:3]
; %bb.21:
	v_bfe_u32 v20, v0, 16, 1
	s_movk_i32 s14, 0x7fff
	v_add3_u32 v20, v0, v20, s14
; %bb.22:
	s_andn2_saveexec_b64 s[2:3], s[2:3]
; %bb.23:
	v_mov_b32_e32 v20, 0
	v_or_b32_e32 v21, 0x10000, v0
	v_cmp_eq_u32_sdwa vcc, v0, v20 src0_sel:WORD_0 src1_sel:DWORD
	s_nop 1
	v_cndmask_b32_e32 v20, v21, v0, vcc
; %bb.24:
	s_or_b64 exec, exec, s[2:3]
	s_mov_b32 s2, 0x7f800000
	v_and_b32_e32 v0, 0x7f800000, v1
	v_cmp_ne_u32_e32 vcc, s2, v0
                                        ; implicit-def: $vgpr21
	s_and_saveexec_b64 s[2:3], vcc
	s_xor_b64 s[2:3], exec, s[2:3]
; %bb.25:
	v_bfe_u32 v0, v1, 16, 1
	s_movk_i32 s14, 0x7fff
	v_add3_u32 v21, v1, v0, s14
; %bb.26:
	s_andn2_saveexec_b64 s[2:3], s[2:3]
; %bb.27:
	v_mov_b32_e32 v0, 0
	v_or_b32_e32 v21, 0x10000, v1
	v_cmp_eq_u32_sdwa vcc, v1, v0 src0_sel:WORD_0 src1_sel:DWORD
	s_nop 1
	v_cndmask_b32_e32 v21, v21, v1, vcc
; %bb.28:
	s_or_b64 exec, exec, s[2:3]
	s_mov_b32 s2, 0x7f800000
	v_and_b32_e32 v0, 0x7f800000, v2
	v_cmp_ne_u32_e32 vcc, s2, v0
                                        ; implicit-def: $vgpr22
	s_and_saveexec_b64 s[2:3], vcc
	s_xor_b64 s[2:3], exec, s[2:3]
; %bb.29:
	v_bfe_u32 v0, v2, 16, 1
	s_movk_i32 s14, 0x7fff
	v_add3_u32 v22, v2, v0, s14
; %bb.30:
	s_andn2_saveexec_b64 s[2:3], s[2:3]
; %bb.31:
	v_mov_b32_e32 v0, 0
	v_or_b32_e32 v1, 0x10000, v2
	v_cmp_eq_u32_sdwa vcc, v2, v0 src0_sel:WORD_0 src1_sel:DWORD
	s_nop 1
	v_cndmask_b32_e32 v22, v1, v2, vcc
; %bb.32:
	s_or_b64 exec, exec, s[2:3]
	s_mov_b32 s2, 0x7f800000
	v_and_b32_e32 v0, 0x7f800000, v3
	v_cmp_ne_u32_e32 vcc, s2, v0
                                        ; implicit-def: $vgpr23
	s_and_saveexec_b64 s[2:3], vcc
	s_xor_b64 s[2:3], exec, s[2:3]
; %bb.33:
	v_bfe_u32 v0, v3, 16, 1
	s_movk_i32 s14, 0x7fff
	v_add3_u32 v23, v3, v0, s14
; %bb.34:
	s_andn2_saveexec_b64 s[2:3], s[2:3]
; %bb.35:
	v_mov_b32_e32 v0, 0
	v_or_b32_e32 v1, 0x10000, v3
	v_cmp_eq_u32_sdwa vcc, v3, v0 src0_sel:WORD_0 src1_sel:DWORD
	s_nop 1
	v_cndmask_b32_e32 v23, v1, v3, vcc
; %bb.36:
	s_or_b64 exec, exec, s[2:3]
	s_mov_b32 s2, 0x7f800000
	v_and_b32_e32 v0, 0x7f800000, v4
	v_cmp_ne_u32_e32 vcc, s2, v0
                                        ; implicit-def: $vgpr24
	s_and_saveexec_b64 s[2:3], vcc
	s_xor_b64 s[2:3], exec, s[2:3]
; %bb.37:
	v_bfe_u32 v0, v4, 16, 1
	s_movk_i32 s14, 0x7fff
	v_add3_u32 v24, v4, v0, s14
; %bb.38:
	s_andn2_saveexec_b64 s[2:3], s[2:3]
; %bb.39:
	v_mov_b32_e32 v0, 0
	v_or_b32_e32 v1, 0x10000, v4
	v_cmp_eq_u32_sdwa vcc, v4, v0 src0_sel:WORD_0 src1_sel:DWORD
	s_nop 1
	v_cndmask_b32_e32 v24, v1, v4, vcc
; %bb.40:
	s_or_b64 exec, exec, s[2:3]
	s_mov_b32 s2, 0x7f800000
	v_and_b32_e32 v0, 0x7f800000, v5
	v_cmp_ne_u32_e32 vcc, s2, v0
                                        ; implicit-def: $vgpr25
	s_and_saveexec_b64 s[2:3], vcc
	s_xor_b64 s[2:3], exec, s[2:3]
; %bb.41:
	v_bfe_u32 v0, v5, 16, 1
	s_movk_i32 s14, 0x7fff
	v_add3_u32 v25, v5, v0, s14
; %bb.42:
	s_andn2_saveexec_b64 s[2:3], s[2:3]
; %bb.43:
	v_mov_b32_e32 v0, 0
	v_or_b32_e32 v1, 0x10000, v5
	v_cmp_eq_u32_sdwa vcc, v5, v0 src0_sel:WORD_0 src1_sel:DWORD
	s_nop 1
	v_cndmask_b32_e32 v25, v1, v5, vcc
; %bb.44:
	s_or_b64 exec, exec, s[2:3]
	s_mov_b32 s2, 0x7f800000
	v_and_b32_e32 v0, 0x7f800000, v6
	v_cmp_ne_u32_e32 vcc, s2, v0
                                        ; implicit-def: $vgpr26
	s_and_saveexec_b64 s[2:3], vcc
	s_xor_b64 s[2:3], exec, s[2:3]
; %bb.45:
	v_bfe_u32 v0, v6, 16, 1
	s_movk_i32 s14, 0x7fff
	v_add3_u32 v26, v6, v0, s14
; %bb.46:
	s_andn2_saveexec_b64 s[2:3], s[2:3]
; %bb.47:
	v_mov_b32_e32 v0, 0
	v_or_b32_e32 v1, 0x10000, v6
	v_cmp_eq_u32_sdwa vcc, v6, v0 src0_sel:WORD_0 src1_sel:DWORD
	s_nop 1
	v_cndmask_b32_e32 v26, v1, v6, vcc
; %bb.48:
	s_or_b64 exec, exec, s[2:3]
	s_mov_b32 s2, 0x7f800000
	v_and_b32_e32 v0, 0x7f800000, v7
	v_cmp_ne_u32_e32 vcc, s2, v0
                                        ; implicit-def: $vgpr27
	s_and_saveexec_b64 s[2:3], vcc
	s_xor_b64 s[2:3], exec, s[2:3]
; %bb.49:
	v_bfe_u32 v0, v7, 16, 1
	s_movk_i32 s14, 0x7fff
	v_add3_u32 v27, v7, v0, s14
; %bb.50:
	s_andn2_saveexec_b64 s[2:3], s[2:3]
; %bb.51:
	v_mov_b32_e32 v0, 0
	v_or_b32_e32 v1, 0x10000, v7
	v_cmp_eq_u32_sdwa vcc, v7, v0 src0_sel:WORD_0 src1_sel:DWORD
	s_nop 1
	v_cndmask_b32_e32 v27, v1, v7, vcc
; %bb.52:
	s_or_b64 exec, exec, s[2:3]
	s_mov_b32 s2, 0x7f800000
	v_and_b32_e32 v0, 0x7f800000, v8
	v_cmp_ne_u32_e32 vcc, s2, v0
                                        ; implicit-def: $vgpr28
	s_and_saveexec_b64 s[2:3], vcc
	s_xor_b64 s[2:3], exec, s[2:3]
; %bb.53:
	v_bfe_u32 v0, v8, 16, 1
	s_movk_i32 s14, 0x7fff
	v_add3_u32 v28, v8, v0, s14
; %bb.54:
	s_andn2_saveexec_b64 s[2:3], s[2:3]
; %bb.55:
	v_mov_b32_e32 v0, 0
	v_or_b32_e32 v1, 0x10000, v8
	v_cmp_eq_u32_sdwa vcc, v8, v0 src0_sel:WORD_0 src1_sel:DWORD
	s_nop 1
	v_cndmask_b32_e32 v28, v1, v8, vcc
; %bb.56:
	s_or_b64 exec, exec, s[2:3]
	s_mov_b32 s2, 0x7f800000
	v_and_b32_e32 v0, 0x7f800000, v9
	v_cmp_ne_u32_e32 vcc, s2, v0
                                        ; implicit-def: $vgpr29
	s_and_saveexec_b64 s[2:3], vcc
	s_xor_b64 s[2:3], exec, s[2:3]
; %bb.57:
	v_bfe_u32 v0, v9, 16, 1
	s_movk_i32 s14, 0x7fff
	v_add3_u32 v29, v9, v0, s14
; %bb.58:
	s_andn2_saveexec_b64 s[2:3], s[2:3]
; %bb.59:
	v_mov_b32_e32 v0, 0
	v_or_b32_e32 v1, 0x10000, v9
	v_cmp_eq_u32_sdwa vcc, v9, v0 src0_sel:WORD_0 src1_sel:DWORD
	s_nop 1
	v_cndmask_b32_e32 v29, v1, v9, vcc
; %bb.60:
	s_or_b64 exec, exec, s[2:3]
	s_mov_b32 s2, 0x7f800000
	v_and_b32_e32 v0, 0x7f800000, v10
	v_cmp_ne_u32_e32 vcc, s2, v0
                                        ; implicit-def: $vgpr30
	s_and_saveexec_b64 s[2:3], vcc
	s_xor_b64 s[2:3], exec, s[2:3]
; %bb.61:
	v_bfe_u32 v0, v10, 16, 1
	s_movk_i32 s14, 0x7fff
	v_add3_u32 v30, v10, v0, s14
; %bb.62:
	s_andn2_saveexec_b64 s[2:3], s[2:3]
; %bb.63:
	v_mov_b32_e32 v0, 0
	v_or_b32_e32 v1, 0x10000, v10
	v_cmp_eq_u32_sdwa vcc, v10, v0 src0_sel:WORD_0 src1_sel:DWORD
	s_nop 1
	v_cndmask_b32_e32 v30, v1, v10, vcc
; %bb.64:
	s_or_b64 exec, exec, s[2:3]
	s_mov_b32 s2, 0x7f800000
	v_and_b32_e32 v0, 0x7f800000, v11
	v_cmp_ne_u32_e32 vcc, s2, v0
                                        ; implicit-def: $vgpr31
	s_and_saveexec_b64 s[2:3], vcc
	s_xor_b64 s[2:3], exec, s[2:3]
; %bb.65:
	v_bfe_u32 v0, v11, 16, 1
	s_movk_i32 s14, 0x7fff
	v_add3_u32 v31, v11, v0, s14
; %bb.66:
	s_andn2_saveexec_b64 s[2:3], s[2:3]
; %bb.67:
	v_mov_b32_e32 v0, 0
	v_or_b32_e32 v1, 0x10000, v11
	v_cmp_eq_u32_sdwa vcc, v11, v0 src0_sel:WORD_0 src1_sel:DWORD
	s_nop 1
	v_cndmask_b32_e32 v31, v1, v11, vcc
; %bb.68:
	s_or_b64 exec, exec, s[2:3]
	s_mov_b32 s2, 0x7f800000
	v_and_b32_e32 v0, 0x7f800000, v12
	v_cmp_ne_u32_e32 vcc, s2, v0
                                        ; implicit-def: $vgpr32
	s_and_saveexec_b64 s[2:3], vcc
	s_xor_b64 s[2:3], exec, s[2:3]
; %bb.69:
	v_bfe_u32 v0, v12, 16, 1
	s_movk_i32 s14, 0x7fff
	v_add3_u32 v32, v12, v0, s14
; %bb.70:
	s_andn2_saveexec_b64 s[2:3], s[2:3]
; %bb.71:
	v_mov_b32_e32 v0, 0
	v_or_b32_e32 v1, 0x10000, v12
	v_cmp_eq_u32_sdwa vcc, v12, v0 src0_sel:WORD_0 src1_sel:DWORD
	s_nop 1
	v_cndmask_b32_e32 v32, v1, v12, vcc
; %bb.72:
	s_or_b64 exec, exec, s[2:3]
	s_mov_b32 s2, 0x7f800000
	v_and_b32_e32 v0, 0x7f800000, v13
	v_cmp_ne_u32_e32 vcc, s2, v0
                                        ; implicit-def: $vgpr33
	s_and_saveexec_b64 s[2:3], vcc
	s_xor_b64 s[2:3], exec, s[2:3]
; %bb.73:
	v_bfe_u32 v0, v13, 16, 1
	s_movk_i32 s14, 0x7fff
	v_add3_u32 v33, v13, v0, s14
; %bb.74:
	s_andn2_saveexec_b64 s[2:3], s[2:3]
; %bb.75:
	v_mov_b32_e32 v0, 0
	v_or_b32_e32 v1, 0x10000, v13
	v_cmp_eq_u32_sdwa vcc, v13, v0 src0_sel:WORD_0 src1_sel:DWORD
	s_nop 1
	v_cndmask_b32_e32 v33, v1, v13, vcc
; %bb.76:
	s_or_b64 exec, exec, s[2:3]
	s_mov_b32 s2, 0x7f800000
	v_and_b32_e32 v0, 0x7f800000, v14
	v_cmp_ne_u32_e32 vcc, s2, v0
                                        ; implicit-def: $vgpr34
	s_and_saveexec_b64 s[2:3], vcc
	s_xor_b64 s[2:3], exec, s[2:3]
; %bb.77:
	v_bfe_u32 v0, v14, 16, 1
	s_movk_i32 s14, 0x7fff
	v_add3_u32 v34, v14, v0, s14
; %bb.78:
	s_andn2_saveexec_b64 s[2:3], s[2:3]
; %bb.79:
	v_mov_b32_e32 v0, 0
	v_or_b32_e32 v1, 0x10000, v14
	v_cmp_eq_u32_sdwa vcc, v14, v0 src0_sel:WORD_0 src1_sel:DWORD
	s_nop 1
	v_cndmask_b32_e32 v34, v1, v14, vcc
; %bb.80:
	s_or_b64 exec, exec, s[2:3]
	s_mov_b32 s2, 0x7f800000
	v_and_b32_e32 v0, 0x7f800000, v15
	v_cmp_ne_u32_e32 vcc, s2, v0
                                        ; implicit-def: $vgpr35
	s_and_saveexec_b64 s[2:3], vcc
	s_xor_b64 s[2:3], exec, s[2:3]
	s_cbranch_execnz .LBB6_155
; %bb.81:
	s_andn2_saveexec_b64 s[2:3], s[2:3]
	s_cbranch_execnz .LBB6_156
.LBB6_82:
	s_or_b64 exec, exec, s[2:3]
	s_and_saveexec_b64 s[2:3], s[0:1]
	s_xor_b64 s[0:1], exec, s[2:3]
	s_cbranch_execnz .LBB6_157
.LBB6_83:
	s_andn2_saveexec_b64 s[0:1], s[0:1]
	s_cbranch_execz .LBB6_85
.LBB6_84:
	v_mul_lo_u32 v2, v19, s16
	v_mul_lo_u32 v3, v18, s22
	v_mad_u64_u32 v[0:1], s[0:1], v18, s16, 0
	v_add3_u32 v1, v1, v3, v2
	v_sub_co_u32_e32 v2, vcc, v16, v0
	s_ashr_i32 s2, s17, 31
	s_nop 0
	v_subb_co_u32_e32 v3, vcc, v17, v1, vcc
	v_mov_b64_e32 v[0:1], s[8:9]
	v_mad_u64_u32 v[0:1], s[0:1], v18, s17, v[0:1]
	v_mul_lo_u32 v4, v19, s17
	v_mul_lo_u32 v5, v18, s2
	v_add3_u32 v1, v4, v1, v5
	s_movk_i32 s2, 0x240
	v_mad_u64_u32 v[0:1], s[0:1], v2, s2, v[0:1]
	v_mov_b32_e32 v2, v1
	v_mad_u64_u32 v[2:3], s[0:1], v3, s2, v[2:3]
	v_mov_b32_e32 v1, v2
	v_lshlrev_b32_e32 v2, 1, v36
	v_mov_b32_e32 v3, 0
	s_mov_b32 s0, 0x7060302
	v_lshl_add_u64 v[4:5], v[0:1], 0, v[2:3]
	v_perm_b32 v3, v27, v26, s0
	v_perm_b32 v2, v25, v24, s0
	v_perm_b32 v1, v23, v22, s0
	v_perm_b32 v0, v21, v20, s0
	global_store_dwordx4 v[4:5], v[0:3], off offset:-448
	s_nop 1
	v_perm_b32 v3, v35, v34, s0
	v_perm_b32 v2, v33, v32, s0
	;; [unrolled: 1-line block ×4, first 2 shown]
	global_store_dwordx4 v[4:5], v[0:3], off offset:-432
.LBB6_85:
	s_or_b64 exec, exec, s[10:11]
                                        ; implicit-def: $vgpr32
                                        ; implicit-def: $vgpr34
                                        ; implicit-def: $vgpr36
                                        ; implicit-def: $vgpr0_vgpr1_vgpr2_vgpr3_vgpr4_vgpr5_vgpr6_vgpr7_vgpr8_vgpr9_vgpr10_vgpr11_vgpr12_vgpr13_vgpr14_vgpr15
	s_andn2_saveexec_b64 s[0:1], s[12:13]
	s_cbranch_execz .LBB6_151
.LBB6_86:
	s_mov_b32 s2, 0x7f800000
	v_and_b32_e32 v16, 0x7f800000, v0
	v_cmp_ne_u32_e32 vcc, s2, v16
                                        ; implicit-def: $vgpr16
	s_and_saveexec_b64 s[2:3], vcc
	s_xor_b64 s[2:3], exec, s[2:3]
	s_cbranch_execz .LBB6_88
; %bb.87:
	v_bfe_u32 v16, v0, 16, 1
	s_waitcnt lgkmcnt(0)
	s_movk_i32 s8, 0x7fff
	v_add3_u32 v16, v0, v16, s8
.LBB6_88:
	s_andn2_saveexec_b64 s[2:3], s[2:3]
; %bb.89:
	v_mov_b32_e32 v16, 0
	v_or_b32_e32 v17, 0x10000, v0
	v_cmp_eq_u32_sdwa vcc, v0, v16 src0_sel:WORD_0 src1_sel:DWORD
	s_nop 1
	v_cndmask_b32_e32 v16, v17, v0, vcc
; %bb.90:
	s_or_b64 exec, exec, s[2:3]
	s_mov_b32 s2, 0x7f800000
	v_and_b32_e32 v0, 0x7f800000, v1
	v_cmp_ne_u32_e32 vcc, s2, v0
                                        ; implicit-def: $vgpr17
	s_and_saveexec_b64 s[2:3], vcc
	s_xor_b64 s[2:3], exec, s[2:3]
	s_cbranch_execz .LBB6_92
; %bb.91:
	v_bfe_u32 v0, v1, 16, 1
	s_waitcnt lgkmcnt(0)
	s_movk_i32 s8, 0x7fff
	v_add3_u32 v17, v1, v0, s8
.LBB6_92:
	s_andn2_saveexec_b64 s[2:3], s[2:3]
; %bb.93:
	v_mov_b32_e32 v0, 0
	v_or_b32_e32 v17, 0x10000, v1
	v_cmp_eq_u32_sdwa vcc, v1, v0 src0_sel:WORD_0 src1_sel:DWORD
	s_nop 1
	v_cndmask_b32_e32 v17, v17, v1, vcc
; %bb.94:
	s_or_b64 exec, exec, s[2:3]
	s_mov_b32 s2, 0x7f800000
	v_and_b32_e32 v0, 0x7f800000, v2
	v_cmp_ne_u32_e32 vcc, s2, v0
                                        ; implicit-def: $vgpr18
	s_and_saveexec_b64 s[2:3], vcc
	s_xor_b64 s[2:3], exec, s[2:3]
	s_cbranch_execz .LBB6_96
; %bb.95:
	v_bfe_u32 v0, v2, 16, 1
	s_waitcnt lgkmcnt(0)
	s_movk_i32 s8, 0x7fff
	v_add3_u32 v18, v2, v0, s8
.LBB6_96:
	s_andn2_saveexec_b64 s[2:3], s[2:3]
; %bb.97:
	v_mov_b32_e32 v0, 0
	v_or_b32_e32 v1, 0x10000, v2
	v_cmp_eq_u32_sdwa vcc, v2, v0 src0_sel:WORD_0 src1_sel:DWORD
	s_nop 1
	v_cndmask_b32_e32 v18, v1, v2, vcc
; %bb.98:
	s_or_b64 exec, exec, s[2:3]
	s_mov_b32 s2, 0x7f800000
	v_and_b32_e32 v0, 0x7f800000, v3
	v_cmp_ne_u32_e32 vcc, s2, v0
                                        ; implicit-def: $vgpr19
	s_and_saveexec_b64 s[2:3], vcc
	s_xor_b64 s[2:3], exec, s[2:3]
	s_cbranch_execz .LBB6_100
; %bb.99:
	v_bfe_u32 v0, v3, 16, 1
	s_waitcnt lgkmcnt(0)
	s_movk_i32 s8, 0x7fff
	v_add3_u32 v19, v3, v0, s8
.LBB6_100:
	s_andn2_saveexec_b64 s[2:3], s[2:3]
; %bb.101:
	v_mov_b32_e32 v0, 0
	v_or_b32_e32 v1, 0x10000, v3
	v_cmp_eq_u32_sdwa vcc, v3, v0 src0_sel:WORD_0 src1_sel:DWORD
	s_nop 1
	v_cndmask_b32_e32 v19, v1, v3, vcc
; %bb.102:
	s_or_b64 exec, exec, s[2:3]
	s_mov_b32 s2, 0x7f800000
	v_and_b32_e32 v0, 0x7f800000, v4
	v_cmp_ne_u32_e32 vcc, s2, v0
                                        ; implicit-def: $vgpr20
	s_and_saveexec_b64 s[2:3], vcc
	s_xor_b64 s[2:3], exec, s[2:3]
	s_cbranch_execz .LBB6_104
; %bb.103:
	v_bfe_u32 v0, v4, 16, 1
	s_waitcnt lgkmcnt(0)
	s_movk_i32 s8, 0x7fff
	v_add3_u32 v20, v4, v0, s8
.LBB6_104:
	s_andn2_saveexec_b64 s[2:3], s[2:3]
; %bb.105:
	v_mov_b32_e32 v0, 0
	v_or_b32_e32 v1, 0x10000, v4
	v_cmp_eq_u32_sdwa vcc, v4, v0 src0_sel:WORD_0 src1_sel:DWORD
	s_nop 1
	v_cndmask_b32_e32 v20, v1, v4, vcc
; %bb.106:
	s_or_b64 exec, exec, s[2:3]
	s_mov_b32 s2, 0x7f800000
	v_and_b32_e32 v0, 0x7f800000, v5
	v_cmp_ne_u32_e32 vcc, s2, v0
                                        ; implicit-def: $vgpr21
	s_and_saveexec_b64 s[2:3], vcc
	s_xor_b64 s[2:3], exec, s[2:3]
	s_cbranch_execz .LBB6_108
; %bb.107:
	v_bfe_u32 v0, v5, 16, 1
	s_waitcnt lgkmcnt(0)
	s_movk_i32 s8, 0x7fff
	v_add3_u32 v21, v5, v0, s8
.LBB6_108:
	s_andn2_saveexec_b64 s[2:3], s[2:3]
; %bb.109:
	v_mov_b32_e32 v0, 0
	v_or_b32_e32 v1, 0x10000, v5
	v_cmp_eq_u32_sdwa vcc, v5, v0 src0_sel:WORD_0 src1_sel:DWORD
	s_nop 1
	v_cndmask_b32_e32 v21, v1, v5, vcc
; %bb.110:
	s_or_b64 exec, exec, s[2:3]
	s_mov_b32 s2, 0x7f800000
	v_and_b32_e32 v0, 0x7f800000, v6
	v_cmp_ne_u32_e32 vcc, s2, v0
                                        ; implicit-def: $vgpr22
	s_and_saveexec_b64 s[2:3], vcc
	s_xor_b64 s[2:3], exec, s[2:3]
	s_cbranch_execz .LBB6_112
; %bb.111:
	v_bfe_u32 v0, v6, 16, 1
	s_waitcnt lgkmcnt(0)
	s_movk_i32 s8, 0x7fff
	v_add3_u32 v22, v6, v0, s8
.LBB6_112:
	s_andn2_saveexec_b64 s[2:3], s[2:3]
; %bb.113:
	v_mov_b32_e32 v0, 0
	v_or_b32_e32 v1, 0x10000, v6
	v_cmp_eq_u32_sdwa vcc, v6, v0 src0_sel:WORD_0 src1_sel:DWORD
	s_nop 1
	v_cndmask_b32_e32 v22, v1, v6, vcc
; %bb.114:
	s_or_b64 exec, exec, s[2:3]
	s_mov_b32 s2, 0x7f800000
	v_and_b32_e32 v0, 0x7f800000, v7
	v_cmp_ne_u32_e32 vcc, s2, v0
                                        ; implicit-def: $vgpr23
	s_and_saveexec_b64 s[2:3], vcc
	s_xor_b64 s[2:3], exec, s[2:3]
	s_cbranch_execz .LBB6_116
; %bb.115:
	v_bfe_u32 v0, v7, 16, 1
	s_waitcnt lgkmcnt(0)
	s_movk_i32 s8, 0x7fff
	v_add3_u32 v23, v7, v0, s8
.LBB6_116:
	s_andn2_saveexec_b64 s[2:3], s[2:3]
; %bb.117:
	v_mov_b32_e32 v0, 0
	v_or_b32_e32 v1, 0x10000, v7
	v_cmp_eq_u32_sdwa vcc, v7, v0 src0_sel:WORD_0 src1_sel:DWORD
	s_nop 1
	v_cndmask_b32_e32 v23, v1, v7, vcc
; %bb.118:
	s_or_b64 exec, exec, s[2:3]
	s_mov_b32 s2, 0x7f800000
	v_and_b32_e32 v0, 0x7f800000, v8
	v_cmp_ne_u32_e32 vcc, s2, v0
                                        ; implicit-def: $vgpr24
	s_and_saveexec_b64 s[2:3], vcc
	s_xor_b64 s[2:3], exec, s[2:3]
	s_cbranch_execz .LBB6_120
; %bb.119:
	v_bfe_u32 v0, v8, 16, 1
	s_waitcnt lgkmcnt(0)
	s_movk_i32 s8, 0x7fff
	v_add3_u32 v24, v8, v0, s8
.LBB6_120:
	s_andn2_saveexec_b64 s[2:3], s[2:3]
; %bb.121:
	v_mov_b32_e32 v0, 0
	v_or_b32_e32 v1, 0x10000, v8
	v_cmp_eq_u32_sdwa vcc, v8, v0 src0_sel:WORD_0 src1_sel:DWORD
	s_nop 1
	v_cndmask_b32_e32 v24, v1, v8, vcc
; %bb.122:
	s_or_b64 exec, exec, s[2:3]
	s_mov_b32 s2, 0x7f800000
	v_and_b32_e32 v0, 0x7f800000, v9
	v_cmp_ne_u32_e32 vcc, s2, v0
                                        ; implicit-def: $vgpr25
	s_and_saveexec_b64 s[2:3], vcc
	s_xor_b64 s[2:3], exec, s[2:3]
	s_cbranch_execz .LBB6_124
; %bb.123:
	v_bfe_u32 v0, v9, 16, 1
	s_waitcnt lgkmcnt(0)
	s_movk_i32 s8, 0x7fff
	v_add3_u32 v25, v9, v0, s8
.LBB6_124:
	s_andn2_saveexec_b64 s[2:3], s[2:3]
; %bb.125:
	v_mov_b32_e32 v0, 0
	v_or_b32_e32 v1, 0x10000, v9
	v_cmp_eq_u32_sdwa vcc, v9, v0 src0_sel:WORD_0 src1_sel:DWORD
	s_nop 1
	v_cndmask_b32_e32 v25, v1, v9, vcc
; %bb.126:
	s_or_b64 exec, exec, s[2:3]
	s_mov_b32 s2, 0x7f800000
	v_and_b32_e32 v0, 0x7f800000, v10
	v_cmp_ne_u32_e32 vcc, s2, v0
                                        ; implicit-def: $vgpr26
	s_and_saveexec_b64 s[2:3], vcc
	s_xor_b64 s[2:3], exec, s[2:3]
	s_cbranch_execz .LBB6_128
; %bb.127:
	v_bfe_u32 v0, v10, 16, 1
	s_waitcnt lgkmcnt(0)
	s_movk_i32 s8, 0x7fff
	v_add3_u32 v26, v10, v0, s8
.LBB6_128:
	s_andn2_saveexec_b64 s[2:3], s[2:3]
; %bb.129:
	v_mov_b32_e32 v0, 0
	v_or_b32_e32 v1, 0x10000, v10
	v_cmp_eq_u32_sdwa vcc, v10, v0 src0_sel:WORD_0 src1_sel:DWORD
	s_nop 1
	v_cndmask_b32_e32 v26, v1, v10, vcc
; %bb.130:
	s_or_b64 exec, exec, s[2:3]
	s_mov_b32 s2, 0x7f800000
	v_and_b32_e32 v0, 0x7f800000, v11
	v_cmp_ne_u32_e32 vcc, s2, v0
                                        ; implicit-def: $vgpr27
	s_and_saveexec_b64 s[2:3], vcc
	s_xor_b64 s[2:3], exec, s[2:3]
	s_cbranch_execz .LBB6_132
; %bb.131:
	v_bfe_u32 v0, v11, 16, 1
	s_waitcnt lgkmcnt(0)
	s_movk_i32 s8, 0x7fff
	v_add3_u32 v27, v11, v0, s8
.LBB6_132:
	s_andn2_saveexec_b64 s[2:3], s[2:3]
; %bb.133:
	v_mov_b32_e32 v0, 0
	v_or_b32_e32 v1, 0x10000, v11
	v_cmp_eq_u32_sdwa vcc, v11, v0 src0_sel:WORD_0 src1_sel:DWORD
	s_nop 1
	v_cndmask_b32_e32 v27, v1, v11, vcc
; %bb.134:
	s_or_b64 exec, exec, s[2:3]
	s_mov_b32 s2, 0x7f800000
	v_and_b32_e32 v0, 0x7f800000, v12
	v_cmp_ne_u32_e32 vcc, s2, v0
                                        ; implicit-def: $vgpr28
	s_and_saveexec_b64 s[2:3], vcc
	s_xor_b64 s[2:3], exec, s[2:3]
	s_cbranch_execz .LBB6_136
; %bb.135:
	v_bfe_u32 v0, v12, 16, 1
	s_waitcnt lgkmcnt(0)
	s_movk_i32 s8, 0x7fff
	v_add3_u32 v28, v12, v0, s8
.LBB6_136:
	s_andn2_saveexec_b64 s[2:3], s[2:3]
; %bb.137:
	v_mov_b32_e32 v0, 0
	v_or_b32_e32 v1, 0x10000, v12
	v_cmp_eq_u32_sdwa vcc, v12, v0 src0_sel:WORD_0 src1_sel:DWORD
	s_nop 1
	v_cndmask_b32_e32 v28, v1, v12, vcc
; %bb.138:
	s_or_b64 exec, exec, s[2:3]
	s_mov_b32 s2, 0x7f800000
	v_and_b32_e32 v0, 0x7f800000, v13
	v_cmp_ne_u32_e32 vcc, s2, v0
                                        ; implicit-def: $vgpr29
	s_and_saveexec_b64 s[2:3], vcc
	s_xor_b64 s[2:3], exec, s[2:3]
	s_cbranch_execz .LBB6_140
; %bb.139:
	v_bfe_u32 v0, v13, 16, 1
	s_waitcnt lgkmcnt(0)
	s_movk_i32 s8, 0x7fff
	v_add3_u32 v29, v13, v0, s8
.LBB6_140:
	s_andn2_saveexec_b64 s[2:3], s[2:3]
; %bb.141:
	v_mov_b32_e32 v0, 0
	v_or_b32_e32 v1, 0x10000, v13
	v_cmp_eq_u32_sdwa vcc, v13, v0 src0_sel:WORD_0 src1_sel:DWORD
	s_nop 1
	v_cndmask_b32_e32 v29, v1, v13, vcc
; %bb.142:
	s_or_b64 exec, exec, s[2:3]
	s_mov_b32 s2, 0x7f800000
	v_and_b32_e32 v0, 0x7f800000, v14
	v_cmp_ne_u32_e32 vcc, s2, v0
                                        ; implicit-def: $vgpr30
	s_and_saveexec_b64 s[2:3], vcc
	s_xor_b64 s[2:3], exec, s[2:3]
	s_cbranch_execz .LBB6_144
; %bb.143:
	v_bfe_u32 v0, v14, 16, 1
	s_waitcnt lgkmcnt(0)
	s_movk_i32 s8, 0x7fff
	v_add3_u32 v30, v14, v0, s8
.LBB6_144:
	s_andn2_saveexec_b64 s[2:3], s[2:3]
; %bb.145:
	v_mov_b32_e32 v0, 0
	v_or_b32_e32 v1, 0x10000, v14
	v_cmp_eq_u32_sdwa vcc, v14, v0 src0_sel:WORD_0 src1_sel:DWORD
	s_nop 1
	v_cndmask_b32_e32 v30, v1, v14, vcc
; %bb.146:
	s_or_b64 exec, exec, s[2:3]
	s_mov_b32 s2, 0x7f800000
	v_and_b32_e32 v0, 0x7f800000, v15
	v_cmp_ne_u32_e32 vcc, s2, v0
                                        ; implicit-def: $vgpr31
	s_and_saveexec_b64 s[2:3], vcc
	s_xor_b64 s[2:3], exec, s[2:3]
	s_cbranch_execz .LBB6_148
; %bb.147:
	v_bfe_u32 v0, v15, 16, 1
	s_waitcnt lgkmcnt(0)
	s_movk_i32 s8, 0x7fff
	v_add3_u32 v31, v15, v0, s8
                                        ; implicit-def: $vgpr0_vgpr1_vgpr2_vgpr3_vgpr4_vgpr5_vgpr6_vgpr7_vgpr8_vgpr9_vgpr10_vgpr11_vgpr12_vgpr13_vgpr14_vgpr15
.LBB6_148:
	s_andn2_saveexec_b64 s[2:3], s[2:3]
; %bb.149:
	v_mov_b32_e32 v0, 0
	v_or_b32_e32 v1, 0x10000, v15
	v_cmp_eq_u32_sdwa vcc, v15, v0 src0_sel:WORD_0 src1_sel:DWORD
	s_nop 1
	v_cndmask_b32_e32 v31, v1, v15, vcc
; %bb.150:
	s_or_b64 exec, exec, s[2:3]
	v_ashrrev_i32_e32 v35, 31, v34
	v_lshlrev_b64 v[0:1], 14, v[32:33]
	s_waitcnt lgkmcnt(0)
	v_lshl_add_u64 v[0:1], s[4:5], 0, v[0:1]
	v_lshlrev_b64 v[2:3], 10, v[34:35]
	v_lshl_add_u64 v[0:1], v[0:1], 0, v[2:3]
	v_lshlrev_b32_e32 v2, 1, v36
	v_mov_b32_e32 v3, 0
	s_mov_b32 s2, 0x7060302
	v_lshl_add_u64 v[4:5], v[0:1], 0, v[2:3]
	v_perm_b32 v3, v23, v22, s2
	v_perm_b32 v2, v21, v20, s2
	;; [unrolled: 1-line block ×4, first 2 shown]
	global_store_dwordx4 v[4:5], v[0:3], off
	s_nop 1
	v_perm_b32 v3, v31, v30, s2
	v_perm_b32 v2, v29, v28, s2
	;; [unrolled: 1-line block ×4, first 2 shown]
	global_store_dwordx4 v[4:5], v[0:3], off offset:16
.LBB6_151:
	s_or_b64 exec, exec, s[0:1]
                                        ; implicit-def: $vgpr32
                                        ; implicit-def: $vgpr34
                                        ; implicit-def: $vgpr36
.LBB6_152:
	s_andn2_saveexec_b64 s[0:1], s[6:7]
	s_cbranch_execz .LBB6_154
; %bb.153:
	v_ashrrev_i32_e32 v35, 31, v34
	v_lshlrev_b64 v[0:1], 14, v[32:33]
	s_waitcnt lgkmcnt(0)
	v_lshl_add_u64 v[0:1], s[4:5], 0, v[0:1]
	v_lshlrev_b64 v[2:3], 10, v[34:35]
	s_mov_b32 s0, 0
	v_lshl_add_u64 v[0:1], v[0:1], 0, v[2:3]
	v_lshlrev_b32_e32 v2, 1, v36
	v_mov_b32_e32 v3, 0
	s_mov_b32 s1, s0
	v_lshl_add_u64 v[4:5], v[0:1], 0, v[2:3]
	s_mov_b32 s2, s0
	s_mov_b32 s3, s0
	v_mov_b64_e32 v[0:1], s[0:1]
	v_mov_b64_e32 v[2:3], s[2:3]
	global_store_dwordx4 v[4:5], v[0:3], off
	global_store_dwordx4 v[4:5], v[0:3], off offset:16
.LBB6_154:
	s_endpgm
.LBB6_155:
	v_bfe_u32 v0, v15, 16, 1
	s_movk_i32 s14, 0x7fff
	v_add3_u32 v35, v15, v0, s14
                                        ; implicit-def: $vgpr0_vgpr1_vgpr2_vgpr3_vgpr4_vgpr5_vgpr6_vgpr7_vgpr8_vgpr9_vgpr10_vgpr11_vgpr12_vgpr13_vgpr14_vgpr15
	s_andn2_saveexec_b64 s[2:3], s[2:3]
	s_cbranch_execz .LBB6_82
.LBB6_156:
	v_mov_b32_e32 v0, 0
	v_or_b32_e32 v1, 0x10000, v15
	v_cmp_eq_u32_sdwa vcc, v15, v0 src0_sel:WORD_0 src1_sel:DWORD
	s_nop 1
	v_cndmask_b32_e32 v35, v1, v15, vcc
	s_or_b64 exec, exec, s[2:3]
	s_and_saveexec_b64 s[2:3], s[0:1]
	s_xor_b64 s[0:1], exec, s[2:3]
	s_cbranch_execz .LBB6_83
.LBB6_157:
	s_trap 2
	; divergent unreachable
                                        ; implicit-def: $vgpr36
                                        ; implicit-def: $vgpr16_vgpr17
                                        ; implicit-def: $vgpr18_vgpr19
                                        ; implicit-def: $vgpr20
                                        ; implicit-def: $vgpr21
                                        ; implicit-def: $vgpr22
                                        ; implicit-def: $vgpr23
                                        ; implicit-def: $vgpr24
                                        ; implicit-def: $vgpr25
                                        ; implicit-def: $vgpr26
                                        ; implicit-def: $vgpr27
                                        ; implicit-def: $vgpr28
                                        ; implicit-def: $vgpr29
                                        ; implicit-def: $vgpr30
                                        ; implicit-def: $vgpr31
                                        ; implicit-def: $vgpr32
                                        ; implicit-def: $vgpr33
                                        ; implicit-def: $vgpr34
                                        ; implicit-def: $vgpr35
	s_andn2_saveexec_b64 s[0:1], s[0:1]
	s_cbranch_execnz .LBB6_84
	s_branch .LBB6_85
	.section	.rodata,"a",@progbits
	.p2align	6, 0x0
	.amdhsa_kernel _ZN4vllm21deepseek_v4_fused_ops47fusedDeepseekV4QNormRopeKVRopeQuantInsertKernelIN3c108BFloat16ELi16EEEvPKT_PS4_S6_PhPKlSA_PKffiiiii
		.amdhsa_group_segment_fixed_size 0
		.amdhsa_private_segment_fixed_size 0
		.amdhsa_kernarg_size 336
		.amdhsa_user_sgpr_count 2
		.amdhsa_user_sgpr_dispatch_ptr 0
		.amdhsa_user_sgpr_queue_ptr 0
		.amdhsa_user_sgpr_kernarg_segment_ptr 1
		.amdhsa_user_sgpr_dispatch_id 0
		.amdhsa_user_sgpr_kernarg_preload_length 0
		.amdhsa_user_sgpr_kernarg_preload_offset 0
		.amdhsa_user_sgpr_private_segment_size 0
		.amdhsa_uses_dynamic_stack 0
		.amdhsa_enable_private_segment 0
		.amdhsa_system_sgpr_workgroup_id_x 1
		.amdhsa_system_sgpr_workgroup_id_y 0
		.amdhsa_system_sgpr_workgroup_id_z 0
		.amdhsa_system_sgpr_workgroup_info 0
		.amdhsa_system_vgpr_workitem_id 0
		.amdhsa_next_free_vgpr 46
		.amdhsa_next_free_sgpr 24
		.amdhsa_accum_offset 48
		.amdhsa_reserve_vcc 1
		.amdhsa_float_round_mode_32 0
		.amdhsa_float_round_mode_16_64 0
		.amdhsa_float_denorm_mode_32 3
		.amdhsa_float_denorm_mode_16_64 3
		.amdhsa_dx10_clamp 1
		.amdhsa_ieee_mode 1
		.amdhsa_fp16_overflow 0
		.amdhsa_tg_split 0
		.amdhsa_exception_fp_ieee_invalid_op 0
		.amdhsa_exception_fp_denorm_src 0
		.amdhsa_exception_fp_ieee_div_zero 0
		.amdhsa_exception_fp_ieee_overflow 0
		.amdhsa_exception_fp_ieee_underflow 0
		.amdhsa_exception_fp_ieee_inexact 0
		.amdhsa_exception_int_div_zero 0
	.end_amdhsa_kernel
	.section	.text._ZN4vllm21deepseek_v4_fused_ops47fusedDeepseekV4QNormRopeKVRopeQuantInsertKernelIN3c108BFloat16ELi16EEEvPKT_PS4_S6_PhPKlSA_PKffiiiii,"axG",@progbits,_ZN4vllm21deepseek_v4_fused_ops47fusedDeepseekV4QNormRopeKVRopeQuantInsertKernelIN3c108BFloat16ELi16EEEvPKT_PS4_S6_PhPKlSA_PKffiiiii,comdat
.Lfunc_end6:
	.size	_ZN4vllm21deepseek_v4_fused_ops47fusedDeepseekV4QNormRopeKVRopeQuantInsertKernelIN3c108BFloat16ELi16EEEvPKT_PS4_S6_PhPKlSA_PKffiiiii, .Lfunc_end6-_ZN4vllm21deepseek_v4_fused_ops47fusedDeepseekV4QNormRopeKVRopeQuantInsertKernelIN3c108BFloat16ELi16EEEvPKT_PS4_S6_PhPKlSA_PKffiiiii
                                        ; -- End function
	.section	.AMDGPU.csdata,"",@progbits
; Kernel info:
; codeLenInByte = 5676
; NumSgprs: 30
; NumVgprs: 46
; NumAgprs: 0
; TotalNumVgprs: 46
; ScratchSize: 0
; MemoryBound: 1
; FloatMode: 240
; IeeeMode: 1
; LDSByteSize: 0 bytes/workgroup (compile time only)
; SGPRBlocks: 3
; VGPRBlocks: 5
; NumSGPRsForWavesPerEU: 30
; NumVGPRsForWavesPerEU: 46
; AccumOffset: 48
; Occupancy: 8
; WaveLimiterHint : 1
; COMPUTE_PGM_RSRC2:SCRATCH_EN: 0
; COMPUTE_PGM_RSRC2:USER_SGPR: 2
; COMPUTE_PGM_RSRC2:TRAP_HANDLER: 0
; COMPUTE_PGM_RSRC2:TGID_X_EN: 1
; COMPUTE_PGM_RSRC2:TGID_Y_EN: 0
; COMPUTE_PGM_RSRC2:TGID_Z_EN: 0
; COMPUTE_PGM_RSRC2:TIDIG_COMP_CNT: 0
; COMPUTE_PGM_RSRC3_GFX90A:ACCUM_OFFSET: 11
; COMPUTE_PGM_RSRC3_GFX90A:TG_SPLIT: 0
	.section	.text._ZN4vllm21deepseek_v4_fused_ops47fusedDeepseekV4QNormRopeKVRopeQuantInsertKernelIN3c108BFloat16ELi32EEEvPKT_PS4_S6_PhPKlSA_PKffiiiii,"axG",@progbits,_ZN4vllm21deepseek_v4_fused_ops47fusedDeepseekV4QNormRopeKVRopeQuantInsertKernelIN3c108BFloat16ELi32EEEvPKT_PS4_S6_PhPKlSA_PKffiiiii,comdat
	.protected	_ZN4vllm21deepseek_v4_fused_ops47fusedDeepseekV4QNormRopeKVRopeQuantInsertKernelIN3c108BFloat16ELi32EEEvPKT_PS4_S6_PhPKlSA_PKffiiiii ; -- Begin function _ZN4vllm21deepseek_v4_fused_ops47fusedDeepseekV4QNormRopeKVRopeQuantInsertKernelIN3c108BFloat16ELi32EEEvPKT_PS4_S6_PhPKlSA_PKffiiiii
	.globl	_ZN4vllm21deepseek_v4_fused_ops47fusedDeepseekV4QNormRopeKVRopeQuantInsertKernelIN3c108BFloat16ELi32EEEvPKT_PS4_S6_PhPKlSA_PKffiiiii
	.p2align	8
	.type	_ZN4vllm21deepseek_v4_fused_ops47fusedDeepseekV4QNormRopeKVRopeQuantInsertKernelIN3c108BFloat16ELi32EEEvPKT_PS4_S6_PhPKlSA_PKffiiiii,@function
_ZN4vllm21deepseek_v4_fused_ops47fusedDeepseekV4QNormRopeKVRopeQuantInsertKernelIN3c108BFloat16ELi32EEEvPKT_PS4_S6_PhPKlSA_PKffiiiii: ; @_ZN4vllm21deepseek_v4_fused_ops47fusedDeepseekV4QNormRopeKVRopeQuantInsertKernelIN3c108BFloat16ELi32EEEvPKT_PS4_S6_PhPKlSA_PKffiiiii
; %bb.0:
	s_load_dword s3, s[0:1], 0x5c
	s_load_dwordx4 s[12:15], s[0:1], 0x38
	v_lshrrev_b32_e32 v1, 5, v0
	s_waitcnt lgkmcnt(0)
	s_bfe_u32 s3, s3, 0xb0005
	s_mul_i32 s2, s2, s3
	v_add_u32_e32 v1, s2, v1
	s_mov_b32 s2, 0x3e0f83e1
	v_mul_hi_i32 v2, v1, s2
	v_lshrrev_b32_e32 v3, 31, v2
	v_ashrrev_i32_e32 v2, 3, v2
	v_add_u32_e32 v32, v2, v3
	v_cmp_gt_i32_e32 vcc, s13, v32
	s_and_saveexec_b64 s[2:3], vcc
	s_cbranch_execz .LBB7_154
; %bb.1:
	s_load_dwordx2 s[16:17], s[0:1], 0x48
	v_lshl_add_u32 v2, v32, 5, v32
	v_sub_u32_e32 v34, v1, v2
	v_cmp_ne_u32_e64 s[2:3], 32, v34
	v_cmp_gt_i32_e64 s[4:5], s14, v32
	v_cmp_eq_u32_e32 vcc, 32, v34
	s_or_b64 s[4:5], s[2:3], s[4:5]
	s_and_b64 exec, exec, s[4:5]
	s_cbranch_execz .LBB7_154
; %bb.2:
	s_load_dwordx4 s[8:11], s[0:1], 0x18
	s_load_dwordx2 s[18:19], s[0:1], 0x28
	v_cmp_gt_i32_e64 s[4:5], s15, v34
	s_xor_b64 s[6:7], s[2:3], -1
	v_lshlrev_b32_e32 v0, 4, v0
	s_or_b64 s[6:7], s[6:7], s[4:5]
	v_and_b32_e32 v36, 0x1f0, v0
	v_ashrrev_i32_e32 v33, 31, v32
                                        ; implicit-def: $vgpr9
                                        ; implicit-def: $vgpr17
	s_and_saveexec_b64 s[4:5], s[6:7]
	s_cbranch_execz .LBB7_8
; %bb.3:
                                        ; implicit-def: $vgpr0_vgpr1
	s_and_saveexec_b64 s[20:21], vcc
	s_xor_b64 s[20:21], exec, s[20:21]
	s_cbranch_execz .LBB7_5
; %bb.4:
	s_load_dwordx2 s[22:23], s[0:1], 0x10
	v_lshlrev_b64 v[0:1], 10, v[32:33]
	v_lshlrev_b32_e32 v2, 1, v36
	v_mov_b32_e32 v3, 0
	s_waitcnt lgkmcnt(0)
	v_lshl_add_u64 v[0:1], s[22:23], 0, v[0:1]
	v_lshl_add_u64 v[0:1], v[0:1], 0, v[2:3]
.LBB7_5:
	s_andn2_saveexec_b64 s[20:21], s[20:21]
	s_cbranch_execz .LBB7_7
; %bb.6:
	s_load_dwordx2 s[22:23], s[0:1], 0x0
	v_ashrrev_i32_e32 v35, 31, v34
	v_mad_i64_i32 v[0:1], s[14:15], v32, s15, v[34:35]
	v_lshlrev_b64 v[0:1], 10, v[0:1]
	v_lshl_or_b32 v0, v36, 1, v0
	s_waitcnt lgkmcnt(0)
	v_lshl_add_u64 v[0:1], s[22:23], 0, v[0:1]
.LBB7_7:
	s_or_b64 exec, exec, s[20:21]
	global_load_dwordx4 v[6:9], v[0:1], off
	global_load_dwordx4 v[14:17], v[0:1], off offset:16
.LBB7_8:
	s_or_b64 exec, exec, s[4:5]
	s_load_dwordx2 s[4:5], s[0:1], 0x8
	s_load_dwordx2 s[14:15], s[0:1], 0x30
	s_and_saveexec_b64 s[0:1], s[6:7]
	s_xor_b64 s[6:7], exec, s[0:1]
	s_cbranch_execz .LBB7_152
; %bb.9:
	s_waitcnt vmcnt(1)
	v_and_b32_e32 v1, 0xffff0000, v6
	v_lshlrev_b32_e32 v0, 16, v6
	v_and_b32_e32 v3, 0xffff0000, v7
	v_lshlrev_b32_e32 v2, 16, v7
	;; [unrolled: 2-line block ×4, first 2 shown]
	s_waitcnt vmcnt(0)
	v_and_b32_e32 v9, 0xffff0000, v14
	v_lshlrev_b32_e32 v8, 16, v14
	v_and_b32_e32 v11, 0xffff0000, v15
	v_lshlrev_b32_e32 v10, 16, v15
	;; [unrolled: 2-line block ×4, first 2 shown]
	s_and_saveexec_b64 s[20:21], s[2:3]
	s_cbranch_execz .LBB7_11
; %bb.10:
	v_pk_mul_f32 v[16:17], v[0:1], v[0:1]
	v_pk_mul_f32 v[18:19], v[2:3], v[2:3]
	v_add_f32_e32 v16, v16, v17
	v_add_f32_e32 v16, v18, v16
	v_pk_mul_f32 v[20:21], v[4:5], v[4:5]
	v_add_f32_e32 v16, v19, v16
	v_add_f32_e32 v16, v20, v16
	;; [unrolled: 3-line block ×4, first 2 shown]
	v_pk_mul_f32 v[26:27], v[10:11], v[10:11]
	v_add_f32_e32 v16, v25, v16
	v_mbcnt_lo_u32_b32 v17, -1, 0
	v_add_f32_e32 v16, v26, v16
	v_mbcnt_hi_u32_b32 v17, -1, v17
	v_pk_mul_f32 v[28:29], v[12:13], v[12:13]
	v_add_f32_e32 v16, v27, v16
	v_and_b32_e32 v18, 0x60, v17
	v_add_f32_e32 v16, v28, v16
	v_add_u32_e32 v18, 32, v18
	v_xor_b32_e32 v19, 16, v17
	v_pk_mul_f32 v[30:31], v[14:15], v[14:15]
	v_add_f32_e32 v16, v29, v16
	v_cmp_lt_i32_e64 s[0:1], v19, v18
	v_add_f32_e32 v16, v30, v16
	v_add_f32_e32 v16, v31, v16
	v_cndmask_b32_e64 v19, v17, v19, s[0:1]
	v_lshlrev_b32_e32 v19, 2, v19
	ds_bpermute_b32 v19, v19, v16
	s_waitcnt lgkmcnt(0)
	v_add_f32_e32 v16, v16, v19
	v_xor_b32_e32 v19, 8, v17
	v_cmp_lt_i32_e64 s[0:1], v19, v18
	s_nop 1
	v_cndmask_b32_e64 v19, v17, v19, s[0:1]
	v_lshlrev_b32_e32 v19, 2, v19
	ds_bpermute_b32 v19, v19, v16
	s_waitcnt lgkmcnt(0)
	v_add_f32_e32 v16, v16, v19
	v_xor_b32_e32 v19, 4, v17
	v_cmp_lt_i32_e64 s[0:1], v19, v18
	s_nop 1
	v_cndmask_b32_e64 v19, v17, v19, s[0:1]
	v_lshlrev_b32_e32 v19, 2, v19
	ds_bpermute_b32 v19, v19, v16
	s_waitcnt lgkmcnt(0)
	v_add_f32_e32 v16, v16, v19
	v_xor_b32_e32 v19, 2, v17
	v_cmp_lt_i32_e64 s[0:1], v19, v18
	s_nop 1
	v_cndmask_b32_e64 v19, v17, v19, s[0:1]
	v_lshlrev_b32_e32 v19, 2, v19
	ds_bpermute_b32 v19, v19, v16
	s_waitcnt lgkmcnt(0)
	v_add_f32_e32 v16, v16, v19
	v_xor_b32_e32 v19, 1, v17
	v_cmp_lt_i32_e64 s[0:1], v19, v18
	s_nop 1
	v_cndmask_b32_e64 v17, v17, v19, s[0:1]
	v_lshlrev_b32_e32 v17, 2, v17
	ds_bpermute_b32 v17, v17, v16
	s_mov_b32 s0, 0x800000
	s_waitcnt lgkmcnt(0)
	v_add_f32_e32 v16, v16, v17
	v_mov_b32_e32 v17, s12
	v_fmamk_f32 v16, v16, 0x3b000000, v17
	v_mul_f32_e32 v17, 0x4b800000, v16
	v_cmp_gt_f32_e64 s[0:1], s0, v16
	s_nop 1
	v_cndmask_b32_e64 v16, v16, v17, s[0:1]
	v_rsq_f32_e32 v16, v16
	s_nop 0
	v_mul_f32_e32 v17, 0x45800000, v16
	v_cndmask_b32_e64 v16, v16, v17, s[0:1]
	v_pk_mul_f32 v[14:15], v[16:17], v[14:15] op_sel_hi:[0,1]
	v_pk_mul_f32 v[12:13], v[16:17], v[12:13] op_sel_hi:[0,1]
	;; [unrolled: 1-line block ×8, first 2 shown]
.LBB7_11:
	s_or_b64 exec, exec, s[20:21]
	s_movk_i32 s0, 0x1c0
	s_movk_i32 s2, 0x1bf
	v_cmp_gt_u32_e64 s[0:1], s0, v36
	v_cmp_lt_u32_e64 s[2:3], s2, v36
	s_and_saveexec_b64 s[12:13], s[2:3]
	s_cbranch_execnz .LBB7_14
; %bb.12:
	s_or_b64 exec, exec, s[12:13]
	s_and_saveexec_b64 s[2:3], vcc
	s_xor_b64 s[12:13], exec, s[2:3]
	s_cbranch_execnz .LBB7_15
.LBB7_13:
	s_andn2_saveexec_b64 s[0:1], s[12:13]
	s_cbranch_execnz .LBB7_86
	s_branch .LBB7_151
.LBB7_14:
	s_waitcnt lgkmcnt(0)
	v_lshl_add_u64 v[16:17], v[32:33], 3, s[18:19]
	global_load_dwordx2 v[16:17], v[16:17], off
	v_add_u32_e32 v18, 0xfffffe40, v36
	v_mov_b32_e32 v19, 0
	v_lshrrev_b32_e32 v18, 1, v18
	s_waitcnt vmcnt(0)
	v_lshlrev_b64 v[16:17], 8, v[16:17]
	v_lshl_add_u64 v[16:17], s[14:15], 0, v[16:17]
	v_lshl_add_u64 v[16:17], v[18:19], 2, v[16:17]
	global_load_dwordx4 v[20:23], v[16:17], off offset:128
	global_load_dwordx4 v[28:31], v[16:17], off offset:144
	global_load_dwordx4 v[38:41], v[16:17], off
	global_load_dwordx4 v[42:45], v[16:17], off offset:16
	s_waitcnt vmcnt(3)
	v_mul_f32_e32 v16, v1, v20
	v_mul_f32_e32 v17, v0, v20
	;; [unrolled: 1-line block ×8, first 2 shown]
	s_waitcnt vmcnt(2)
	v_mul_f32_e32 v24, v9, v28
	v_mul_f32_e32 v25, v8, v28
	;; [unrolled: 1-line block ×8, first 2 shown]
	s_waitcnt vmcnt(1)
	v_fma_f32 v16, v0, v38, -v16
	v_fmac_f32_e32 v17, v1, v38
	v_fma_f32 v18, v2, v39, -v18
	v_fmac_f32_e32 v19, v3, v39
	;; [unrolled: 2-line block ×4, first 2 shown]
	s_waitcnt vmcnt(0)
	v_fma_f32 v24, v8, v42, -v24
	v_fmac_f32_e32 v25, v9, v42
	v_fma_f32 v26, v10, v43, -v26
	v_fmac_f32_e32 v27, v11, v43
	;; [unrolled: 2-line block ×4, first 2 shown]
	v_mov_b64_e32 v[0:1], v[16:17]
	v_mov_b64_e32 v[2:3], v[18:19]
	;; [unrolled: 1-line block ×8, first 2 shown]
	s_or_b64 exec, exec, s[12:13]
	s_and_saveexec_b64 s[2:3], vcc
	s_xor_b64 s[12:13], exec, s[2:3]
	s_cbranch_execz .LBB7_13
.LBB7_15:
	s_waitcnt lgkmcnt(0)
	v_lshl_add_u64 v[16:17], v[32:33], 3, s[10:11]
	global_load_dwordx2 v[16:17], v[16:17], off
	s_waitcnt vmcnt(0)
	v_cmp_lt_i64_e32 vcc, -1, v[16:17]
	s_and_saveexec_b64 s[10:11], vcc
	s_cbranch_execz .LBB7_85
; %bb.16:
	s_ashr_i32 s22, s16, 31
	v_or_b32_e32 v21, s22, v17
	v_mov_b32_e32 v20, 0
	v_cmp_ne_u64_e32 vcc, 0, v[20:21]
                                        ; implicit-def: $vgpr18_vgpr19
	s_and_saveexec_b64 s[2:3], vcc
	s_xor_b64 s[14:15], exec, s[2:3]
	s_cbranch_execz .LBB7_18
; %bb.17:
	s_add_u32 s2, s16, s22
	s_mov_b32 s18, s22
	s_mov_b32 s19, s22
	s_addc_u32 s3, s22, s22
	s_xor_b64 s[20:21], s[2:3], s[18:19]
	v_cvt_f32_u32_e32 v18, s20
	v_cvt_f32_u32_e32 v19, s21
	s_sub_u32 s2, 0, s20
	s_subb_u32 s3, 0, s21
	v_mov_b32_e32 v23, v20
	v_fmamk_f32 v18, v19, 0x4f800000, v18
	v_rcp_f32_e32 v18, v18
	s_nop 0
	v_mul_f32_e32 v18, 0x5f7ffffc, v18
	v_mul_f32_e32 v19, 0x2f800000, v18
	v_trunc_f32_e32 v19, v19
	v_fmamk_f32 v18, v19, 0xcf800000, v18
	v_cvt_u32_f32_e32 v21, v19
	v_cvt_u32_f32_e32 v24, v18
	v_mul_lo_u32 v18, s2, v21
	v_mul_hi_u32 v22, s2, v24
	v_mul_lo_u32 v19, s3, v24
	v_add_u32_e32 v18, v22, v18
	v_mul_lo_u32 v25, s2, v24
	v_add_u32_e32 v26, v18, v19
	v_mul_hi_u32 v19, v24, v26
	v_mul_lo_u32 v18, v24, v26
	v_mul_hi_u32 v22, v24, v25
	v_lshl_add_u64 v[18:19], v[22:23], 0, v[18:19]
	v_mul_hi_u32 v23, v21, v25
	v_mul_lo_u32 v25, v21, v25
	v_add_co_u32_e32 v18, vcc, v18, v25
	v_mul_hi_u32 v22, v21, v26
	s_nop 0
	v_addc_co_u32_e32 v18, vcc, v19, v23, vcc
	v_mov_b32_e32 v19, v20
	s_nop 0
	v_addc_co_u32_e32 v23, vcc, 0, v22, vcc
	v_mul_lo_u32 v22, v21, v26
	v_lshl_add_u64 v[18:19], v[18:19], 0, v[22:23]
	v_add_co_u32_e32 v24, vcc, v24, v18
	v_mul_lo_u32 v22, s2, v24
	s_nop 0
	v_addc_co_u32_e32 v21, vcc, v21, v19, vcc
	v_mul_lo_u32 v18, s2, v21
	v_mul_hi_u32 v19, s2, v24
	v_add_u32_e32 v18, v19, v18
	v_mul_lo_u32 v19, s3, v24
	v_add_u32_e32 v25, v18, v19
	v_mul_hi_u32 v27, v21, v22
	v_mul_lo_u32 v28, v21, v22
	v_mul_hi_u32 v19, v24, v25
	v_mul_lo_u32 v18, v24, v25
	v_mul_hi_u32 v22, v24, v22
	v_mov_b32_e32 v23, v20
	v_lshl_add_u64 v[18:19], v[22:23], 0, v[18:19]
	v_add_co_u32_e32 v18, vcc, v18, v28
	v_mul_hi_u32 v26, v21, v25
	s_nop 0
	v_addc_co_u32_e32 v18, vcc, v19, v27, vcc
	v_mul_lo_u32 v22, v21, v25
	s_nop 0
	v_addc_co_u32_e32 v23, vcc, 0, v26, vcc
	v_mov_b32_e32 v19, v20
	v_lshl_add_u64 v[18:19], v[18:19], 0, v[22:23]
	v_add_co_u32_e32 v26, vcc, v24, v18
	v_ashrrev_i32_e32 v18, 31, v17
	s_nop 0
	v_addc_co_u32_e32 v21, vcc, v21, v19, vcc
	v_mov_b32_e32 v19, v18
	v_lshl_add_u64 v[22:23], v[16:17], 0, v[18:19]
	v_xor_b32_e32 v28, v22, v18
	v_xor_b32_e32 v19, v23, v18
	v_mad_u64_u32 v[22:23], s[2:3], v28, v21, 0
	v_mul_hi_u32 v24, v28, v26
	v_mov_b32_e32 v25, v20
	v_lshl_add_u64 v[22:23], v[24:25], 0, v[22:23]
	v_mad_u64_u32 v[26:27], s[2:3], v19, v26, 0
	v_mad_u64_u32 v[24:25], s[2:3], v19, v21, 0
	v_add_co_u32_e32 v21, vcc, v22, v26
	s_nop 1
	v_addc_co_u32_e32 v22, vcc, v23, v27, vcc
	v_mov_b32_e32 v23, v20
	s_nop 0
	v_addc_co_u32_e32 v25, vcc, 0, v25, vcc
	v_lshl_add_u64 v[20:21], v[22:23], 0, v[24:25]
	v_mul_lo_u32 v24, s21, v20
	v_mul_lo_u32 v25, s20, v21
	v_mad_u64_u32 v[22:23], s[2:3], s20, v20, 0
	v_add3_u32 v26, v23, v25, v24
	v_sub_u32_e32 v23, v19, v26
	v_mov_b32_e32 v24, s21
	v_sub_co_u32_e32 v27, vcc, v28, v22
	s_nop 1
	v_subb_co_u32_e64 v22, s[2:3], v23, v24, vcc
	v_subrev_co_u32_e64 v23, s[2:3], s20, v27
	v_subb_co_u32_e32 v19, vcc, v19, v26, vcc
	s_nop 0
	v_subbrev_co_u32_e64 v22, s[2:3], 0, v22, s[2:3]
	v_cmp_le_u32_e64 s[2:3], s21, v22
	v_cmp_le_u32_e32 vcc, s21, v19
	s_nop 0
	v_cndmask_b32_e64 v24, 0, -1, s[2:3]
	v_cmp_le_u32_e64 s[2:3], s20, v23
	s_nop 1
	v_cndmask_b32_e64 v23, 0, -1, s[2:3]
	v_cmp_eq_u32_e64 s[2:3], s21, v22
	s_nop 1
	v_cndmask_b32_e64 v28, v24, v23, s[2:3]
	v_lshl_add_u64 v[22:23], v[20:21], 0, 2
	v_lshl_add_u64 v[24:25], v[20:21], 0, 1
	v_cmp_ne_u32_e64 s[2:3], 0, v28
	s_nop 1
	v_cndmask_b32_e64 v23, v25, v23, s[2:3]
	v_cndmask_b32_e64 v25, 0, -1, vcc
	v_cmp_le_u32_e32 vcc, s20, v27
	s_nop 1
	v_cndmask_b32_e64 v26, 0, -1, vcc
	v_cmp_eq_u32_e32 vcc, s21, v19
	s_nop 1
	v_cndmask_b32_e32 v19, v25, v26, vcc
	v_cmp_ne_u32_e32 vcc, 0, v19
	s_nop 1
	v_cndmask_b32_e32 v19, v21, v23, vcc
	v_cndmask_b32_e64 v21, v24, v22, s[2:3]
	v_cndmask_b32_e32 v20, v20, v21, vcc
	v_xor_b32_e32 v21, s19, v18
	v_xor_b32_e32 v18, s18, v18
	;; [unrolled: 1-line block ×4, first 2 shown]
	v_sub_co_u32_e32 v18, vcc, v20, v18
	s_nop 1
	v_subb_co_u32_e32 v19, vcc, v19, v21, vcc
.LBB7_18:
	s_andn2_saveexec_b64 s[2:3], s[14:15]
	s_cbranch_execz .LBB7_20
; %bb.19:
	v_cvt_f32_u32_e32 v18, s16
	s_sub_i32 s14, 0, s16
	v_rcp_iflag_f32_e32 v18, v18
	s_nop 0
	v_mul_f32_e32 v18, 0x4f7ffffe, v18
	v_cvt_u32_f32_e32 v18, v18
	v_mul_lo_u32 v19, s14, v18
	v_mul_hi_u32 v19, v18, v19
	v_add_u32_e32 v18, v18, v19
	v_mul_hi_u32 v18, v16, v18
	v_mul_lo_u32 v19, v18, s16
	v_sub_u32_e32 v19, v16, v19
	v_add_u32_e32 v20, 1, v18
	v_subrev_u32_e32 v21, s16, v19
	v_cmp_le_u32_e32 vcc, s16, v19
	s_nop 1
	v_cndmask_b32_e32 v19, v19, v21, vcc
	v_cndmask_b32_e32 v18, v18, v20, vcc
	v_add_u32_e32 v20, 1, v18
	v_cmp_le_u32_e32 vcc, s16, v19
	v_mov_b32_e32 v19, 0
	s_nop 0
	v_cndmask_b32_e32 v18, v18, v20, vcc
.LBB7_20:
	s_or_b64 exec, exec, s[2:3]
	s_mov_b32 s2, 0x7f800000
	v_and_b32_e32 v20, 0x7f800000, v0
	v_cmp_ne_u32_e32 vcc, s2, v20
                                        ; implicit-def: $vgpr20
	s_and_saveexec_b64 s[2:3], vcc
	s_xor_b64 s[2:3], exec, s[2:3]
; %bb.21:
	v_bfe_u32 v20, v0, 16, 1
	s_movk_i32 s14, 0x7fff
	v_add3_u32 v20, v0, v20, s14
; %bb.22:
	s_andn2_saveexec_b64 s[2:3], s[2:3]
; %bb.23:
	v_mov_b32_e32 v20, 0
	v_or_b32_e32 v21, 0x10000, v0
	v_cmp_eq_u32_sdwa vcc, v0, v20 src0_sel:WORD_0 src1_sel:DWORD
	s_nop 1
	v_cndmask_b32_e32 v20, v21, v0, vcc
; %bb.24:
	s_or_b64 exec, exec, s[2:3]
	s_mov_b32 s2, 0x7f800000
	v_and_b32_e32 v0, 0x7f800000, v1
	v_cmp_ne_u32_e32 vcc, s2, v0
                                        ; implicit-def: $vgpr21
	s_and_saveexec_b64 s[2:3], vcc
	s_xor_b64 s[2:3], exec, s[2:3]
; %bb.25:
	v_bfe_u32 v0, v1, 16, 1
	s_movk_i32 s14, 0x7fff
	v_add3_u32 v21, v1, v0, s14
; %bb.26:
	s_andn2_saveexec_b64 s[2:3], s[2:3]
; %bb.27:
	v_mov_b32_e32 v0, 0
	v_or_b32_e32 v21, 0x10000, v1
	v_cmp_eq_u32_sdwa vcc, v1, v0 src0_sel:WORD_0 src1_sel:DWORD
	s_nop 1
	v_cndmask_b32_e32 v21, v21, v1, vcc
; %bb.28:
	s_or_b64 exec, exec, s[2:3]
	s_mov_b32 s2, 0x7f800000
	v_and_b32_e32 v0, 0x7f800000, v2
	v_cmp_ne_u32_e32 vcc, s2, v0
                                        ; implicit-def: $vgpr22
	s_and_saveexec_b64 s[2:3], vcc
	s_xor_b64 s[2:3], exec, s[2:3]
; %bb.29:
	v_bfe_u32 v0, v2, 16, 1
	s_movk_i32 s14, 0x7fff
	v_add3_u32 v22, v2, v0, s14
; %bb.30:
	s_andn2_saveexec_b64 s[2:3], s[2:3]
; %bb.31:
	v_mov_b32_e32 v0, 0
	v_or_b32_e32 v1, 0x10000, v2
	v_cmp_eq_u32_sdwa vcc, v2, v0 src0_sel:WORD_0 src1_sel:DWORD
	s_nop 1
	v_cndmask_b32_e32 v22, v1, v2, vcc
; %bb.32:
	s_or_b64 exec, exec, s[2:3]
	s_mov_b32 s2, 0x7f800000
	v_and_b32_e32 v0, 0x7f800000, v3
	v_cmp_ne_u32_e32 vcc, s2, v0
                                        ; implicit-def: $vgpr23
	s_and_saveexec_b64 s[2:3], vcc
	s_xor_b64 s[2:3], exec, s[2:3]
; %bb.33:
	v_bfe_u32 v0, v3, 16, 1
	s_movk_i32 s14, 0x7fff
	v_add3_u32 v23, v3, v0, s14
; %bb.34:
	s_andn2_saveexec_b64 s[2:3], s[2:3]
; %bb.35:
	v_mov_b32_e32 v0, 0
	v_or_b32_e32 v1, 0x10000, v3
	v_cmp_eq_u32_sdwa vcc, v3, v0 src0_sel:WORD_0 src1_sel:DWORD
	s_nop 1
	v_cndmask_b32_e32 v23, v1, v3, vcc
; %bb.36:
	s_or_b64 exec, exec, s[2:3]
	s_mov_b32 s2, 0x7f800000
	v_and_b32_e32 v0, 0x7f800000, v4
	v_cmp_ne_u32_e32 vcc, s2, v0
                                        ; implicit-def: $vgpr24
	s_and_saveexec_b64 s[2:3], vcc
	s_xor_b64 s[2:3], exec, s[2:3]
; %bb.37:
	v_bfe_u32 v0, v4, 16, 1
	s_movk_i32 s14, 0x7fff
	v_add3_u32 v24, v4, v0, s14
; %bb.38:
	s_andn2_saveexec_b64 s[2:3], s[2:3]
; %bb.39:
	v_mov_b32_e32 v0, 0
	v_or_b32_e32 v1, 0x10000, v4
	v_cmp_eq_u32_sdwa vcc, v4, v0 src0_sel:WORD_0 src1_sel:DWORD
	s_nop 1
	v_cndmask_b32_e32 v24, v1, v4, vcc
; %bb.40:
	s_or_b64 exec, exec, s[2:3]
	s_mov_b32 s2, 0x7f800000
	v_and_b32_e32 v0, 0x7f800000, v5
	v_cmp_ne_u32_e32 vcc, s2, v0
                                        ; implicit-def: $vgpr25
	s_and_saveexec_b64 s[2:3], vcc
	s_xor_b64 s[2:3], exec, s[2:3]
; %bb.41:
	v_bfe_u32 v0, v5, 16, 1
	s_movk_i32 s14, 0x7fff
	v_add3_u32 v25, v5, v0, s14
; %bb.42:
	s_andn2_saveexec_b64 s[2:3], s[2:3]
; %bb.43:
	v_mov_b32_e32 v0, 0
	v_or_b32_e32 v1, 0x10000, v5
	v_cmp_eq_u32_sdwa vcc, v5, v0 src0_sel:WORD_0 src1_sel:DWORD
	s_nop 1
	v_cndmask_b32_e32 v25, v1, v5, vcc
; %bb.44:
	s_or_b64 exec, exec, s[2:3]
	s_mov_b32 s2, 0x7f800000
	v_and_b32_e32 v0, 0x7f800000, v6
	v_cmp_ne_u32_e32 vcc, s2, v0
                                        ; implicit-def: $vgpr26
	s_and_saveexec_b64 s[2:3], vcc
	s_xor_b64 s[2:3], exec, s[2:3]
; %bb.45:
	v_bfe_u32 v0, v6, 16, 1
	s_movk_i32 s14, 0x7fff
	v_add3_u32 v26, v6, v0, s14
; %bb.46:
	s_andn2_saveexec_b64 s[2:3], s[2:3]
; %bb.47:
	v_mov_b32_e32 v0, 0
	v_or_b32_e32 v1, 0x10000, v6
	v_cmp_eq_u32_sdwa vcc, v6, v0 src0_sel:WORD_0 src1_sel:DWORD
	s_nop 1
	v_cndmask_b32_e32 v26, v1, v6, vcc
; %bb.48:
	s_or_b64 exec, exec, s[2:3]
	s_mov_b32 s2, 0x7f800000
	v_and_b32_e32 v0, 0x7f800000, v7
	v_cmp_ne_u32_e32 vcc, s2, v0
                                        ; implicit-def: $vgpr27
	s_and_saveexec_b64 s[2:3], vcc
	s_xor_b64 s[2:3], exec, s[2:3]
; %bb.49:
	v_bfe_u32 v0, v7, 16, 1
	s_movk_i32 s14, 0x7fff
	v_add3_u32 v27, v7, v0, s14
; %bb.50:
	s_andn2_saveexec_b64 s[2:3], s[2:3]
; %bb.51:
	v_mov_b32_e32 v0, 0
	v_or_b32_e32 v1, 0x10000, v7
	v_cmp_eq_u32_sdwa vcc, v7, v0 src0_sel:WORD_0 src1_sel:DWORD
	s_nop 1
	v_cndmask_b32_e32 v27, v1, v7, vcc
; %bb.52:
	s_or_b64 exec, exec, s[2:3]
	s_mov_b32 s2, 0x7f800000
	v_and_b32_e32 v0, 0x7f800000, v8
	v_cmp_ne_u32_e32 vcc, s2, v0
                                        ; implicit-def: $vgpr28
	s_and_saveexec_b64 s[2:3], vcc
	s_xor_b64 s[2:3], exec, s[2:3]
; %bb.53:
	v_bfe_u32 v0, v8, 16, 1
	s_movk_i32 s14, 0x7fff
	v_add3_u32 v28, v8, v0, s14
; %bb.54:
	s_andn2_saveexec_b64 s[2:3], s[2:3]
; %bb.55:
	v_mov_b32_e32 v0, 0
	v_or_b32_e32 v1, 0x10000, v8
	v_cmp_eq_u32_sdwa vcc, v8, v0 src0_sel:WORD_0 src1_sel:DWORD
	s_nop 1
	v_cndmask_b32_e32 v28, v1, v8, vcc
; %bb.56:
	s_or_b64 exec, exec, s[2:3]
	s_mov_b32 s2, 0x7f800000
	v_and_b32_e32 v0, 0x7f800000, v9
	v_cmp_ne_u32_e32 vcc, s2, v0
                                        ; implicit-def: $vgpr29
	s_and_saveexec_b64 s[2:3], vcc
	s_xor_b64 s[2:3], exec, s[2:3]
; %bb.57:
	v_bfe_u32 v0, v9, 16, 1
	s_movk_i32 s14, 0x7fff
	v_add3_u32 v29, v9, v0, s14
; %bb.58:
	s_andn2_saveexec_b64 s[2:3], s[2:3]
; %bb.59:
	v_mov_b32_e32 v0, 0
	v_or_b32_e32 v1, 0x10000, v9
	v_cmp_eq_u32_sdwa vcc, v9, v0 src0_sel:WORD_0 src1_sel:DWORD
	s_nop 1
	v_cndmask_b32_e32 v29, v1, v9, vcc
; %bb.60:
	s_or_b64 exec, exec, s[2:3]
	s_mov_b32 s2, 0x7f800000
	v_and_b32_e32 v0, 0x7f800000, v10
	v_cmp_ne_u32_e32 vcc, s2, v0
                                        ; implicit-def: $vgpr30
	s_and_saveexec_b64 s[2:3], vcc
	s_xor_b64 s[2:3], exec, s[2:3]
; %bb.61:
	v_bfe_u32 v0, v10, 16, 1
	s_movk_i32 s14, 0x7fff
	v_add3_u32 v30, v10, v0, s14
; %bb.62:
	s_andn2_saveexec_b64 s[2:3], s[2:3]
; %bb.63:
	v_mov_b32_e32 v0, 0
	v_or_b32_e32 v1, 0x10000, v10
	v_cmp_eq_u32_sdwa vcc, v10, v0 src0_sel:WORD_0 src1_sel:DWORD
	s_nop 1
	v_cndmask_b32_e32 v30, v1, v10, vcc
; %bb.64:
	s_or_b64 exec, exec, s[2:3]
	s_mov_b32 s2, 0x7f800000
	v_and_b32_e32 v0, 0x7f800000, v11
	v_cmp_ne_u32_e32 vcc, s2, v0
                                        ; implicit-def: $vgpr31
	s_and_saveexec_b64 s[2:3], vcc
	s_xor_b64 s[2:3], exec, s[2:3]
; %bb.65:
	v_bfe_u32 v0, v11, 16, 1
	s_movk_i32 s14, 0x7fff
	v_add3_u32 v31, v11, v0, s14
; %bb.66:
	s_andn2_saveexec_b64 s[2:3], s[2:3]
; %bb.67:
	v_mov_b32_e32 v0, 0
	v_or_b32_e32 v1, 0x10000, v11
	v_cmp_eq_u32_sdwa vcc, v11, v0 src0_sel:WORD_0 src1_sel:DWORD
	s_nop 1
	v_cndmask_b32_e32 v31, v1, v11, vcc
; %bb.68:
	s_or_b64 exec, exec, s[2:3]
	s_mov_b32 s2, 0x7f800000
	v_and_b32_e32 v0, 0x7f800000, v12
	v_cmp_ne_u32_e32 vcc, s2, v0
                                        ; implicit-def: $vgpr32
	s_and_saveexec_b64 s[2:3], vcc
	s_xor_b64 s[2:3], exec, s[2:3]
; %bb.69:
	v_bfe_u32 v0, v12, 16, 1
	s_movk_i32 s14, 0x7fff
	v_add3_u32 v32, v12, v0, s14
; %bb.70:
	s_andn2_saveexec_b64 s[2:3], s[2:3]
; %bb.71:
	v_mov_b32_e32 v0, 0
	v_or_b32_e32 v1, 0x10000, v12
	v_cmp_eq_u32_sdwa vcc, v12, v0 src0_sel:WORD_0 src1_sel:DWORD
	s_nop 1
	v_cndmask_b32_e32 v32, v1, v12, vcc
; %bb.72:
	s_or_b64 exec, exec, s[2:3]
	s_mov_b32 s2, 0x7f800000
	v_and_b32_e32 v0, 0x7f800000, v13
	v_cmp_ne_u32_e32 vcc, s2, v0
                                        ; implicit-def: $vgpr33
	s_and_saveexec_b64 s[2:3], vcc
	s_xor_b64 s[2:3], exec, s[2:3]
; %bb.73:
	v_bfe_u32 v0, v13, 16, 1
	s_movk_i32 s14, 0x7fff
	v_add3_u32 v33, v13, v0, s14
; %bb.74:
	s_andn2_saveexec_b64 s[2:3], s[2:3]
; %bb.75:
	v_mov_b32_e32 v0, 0
	v_or_b32_e32 v1, 0x10000, v13
	v_cmp_eq_u32_sdwa vcc, v13, v0 src0_sel:WORD_0 src1_sel:DWORD
	s_nop 1
	v_cndmask_b32_e32 v33, v1, v13, vcc
; %bb.76:
	s_or_b64 exec, exec, s[2:3]
	s_mov_b32 s2, 0x7f800000
	v_and_b32_e32 v0, 0x7f800000, v14
	v_cmp_ne_u32_e32 vcc, s2, v0
                                        ; implicit-def: $vgpr34
	s_and_saveexec_b64 s[2:3], vcc
	s_xor_b64 s[2:3], exec, s[2:3]
; %bb.77:
	v_bfe_u32 v0, v14, 16, 1
	s_movk_i32 s14, 0x7fff
	v_add3_u32 v34, v14, v0, s14
; %bb.78:
	s_andn2_saveexec_b64 s[2:3], s[2:3]
; %bb.79:
	v_mov_b32_e32 v0, 0
	v_or_b32_e32 v1, 0x10000, v14
	v_cmp_eq_u32_sdwa vcc, v14, v0 src0_sel:WORD_0 src1_sel:DWORD
	s_nop 1
	v_cndmask_b32_e32 v34, v1, v14, vcc
; %bb.80:
	s_or_b64 exec, exec, s[2:3]
	s_mov_b32 s2, 0x7f800000
	v_and_b32_e32 v0, 0x7f800000, v15
	v_cmp_ne_u32_e32 vcc, s2, v0
                                        ; implicit-def: $vgpr35
	s_and_saveexec_b64 s[2:3], vcc
	s_xor_b64 s[2:3], exec, s[2:3]
	s_cbranch_execnz .LBB7_155
; %bb.81:
	s_andn2_saveexec_b64 s[2:3], s[2:3]
	s_cbranch_execnz .LBB7_156
.LBB7_82:
	s_or_b64 exec, exec, s[2:3]
	s_and_saveexec_b64 s[2:3], s[0:1]
	s_xor_b64 s[0:1], exec, s[2:3]
	s_cbranch_execnz .LBB7_157
.LBB7_83:
	s_andn2_saveexec_b64 s[0:1], s[0:1]
	s_cbranch_execz .LBB7_85
.LBB7_84:
	v_mul_lo_u32 v2, v19, s16
	v_mul_lo_u32 v3, v18, s22
	v_mad_u64_u32 v[0:1], s[0:1], v18, s16, 0
	v_add3_u32 v1, v1, v3, v2
	v_sub_co_u32_e32 v2, vcc, v16, v0
	s_ashr_i32 s2, s17, 31
	s_nop 0
	v_subb_co_u32_e32 v3, vcc, v17, v1, vcc
	v_mov_b64_e32 v[0:1], s[8:9]
	v_mad_u64_u32 v[0:1], s[0:1], v18, s17, v[0:1]
	v_mul_lo_u32 v4, v19, s17
	v_mul_lo_u32 v5, v18, s2
	v_add3_u32 v1, v4, v1, v5
	s_movk_i32 s2, 0x240
	v_mad_u64_u32 v[0:1], s[0:1], v2, s2, v[0:1]
	v_mov_b32_e32 v2, v1
	v_mad_u64_u32 v[2:3], s[0:1], v3, s2, v[2:3]
	v_mov_b32_e32 v1, v2
	v_lshlrev_b32_e32 v2, 1, v36
	v_mov_b32_e32 v3, 0
	s_mov_b32 s0, 0x7060302
	v_lshl_add_u64 v[4:5], v[0:1], 0, v[2:3]
	v_perm_b32 v3, v27, v26, s0
	v_perm_b32 v2, v25, v24, s0
	;; [unrolled: 1-line block ×4, first 2 shown]
	global_store_dwordx4 v[4:5], v[0:3], off offset:-448
	s_nop 1
	v_perm_b32 v3, v35, v34, s0
	v_perm_b32 v2, v33, v32, s0
	;; [unrolled: 1-line block ×4, first 2 shown]
	global_store_dwordx4 v[4:5], v[0:3], off offset:-432
.LBB7_85:
	s_or_b64 exec, exec, s[10:11]
                                        ; implicit-def: $vgpr32
                                        ; implicit-def: $vgpr34
                                        ; implicit-def: $vgpr36
                                        ; implicit-def: $vgpr0_vgpr1_vgpr2_vgpr3_vgpr4_vgpr5_vgpr6_vgpr7_vgpr8_vgpr9_vgpr10_vgpr11_vgpr12_vgpr13_vgpr14_vgpr15
	s_andn2_saveexec_b64 s[0:1], s[12:13]
	s_cbranch_execz .LBB7_151
.LBB7_86:
	s_mov_b32 s2, 0x7f800000
	v_and_b32_e32 v16, 0x7f800000, v0
	v_cmp_ne_u32_e32 vcc, s2, v16
                                        ; implicit-def: $vgpr16
	s_and_saveexec_b64 s[2:3], vcc
	s_xor_b64 s[2:3], exec, s[2:3]
	s_cbranch_execz .LBB7_88
; %bb.87:
	v_bfe_u32 v16, v0, 16, 1
	s_waitcnt lgkmcnt(0)
	s_movk_i32 s8, 0x7fff
	v_add3_u32 v16, v0, v16, s8
.LBB7_88:
	s_andn2_saveexec_b64 s[2:3], s[2:3]
; %bb.89:
	v_mov_b32_e32 v16, 0
	v_or_b32_e32 v17, 0x10000, v0
	v_cmp_eq_u32_sdwa vcc, v0, v16 src0_sel:WORD_0 src1_sel:DWORD
	s_nop 1
	v_cndmask_b32_e32 v16, v17, v0, vcc
; %bb.90:
	s_or_b64 exec, exec, s[2:3]
	s_mov_b32 s2, 0x7f800000
	v_and_b32_e32 v0, 0x7f800000, v1
	v_cmp_ne_u32_e32 vcc, s2, v0
                                        ; implicit-def: $vgpr17
	s_and_saveexec_b64 s[2:3], vcc
	s_xor_b64 s[2:3], exec, s[2:3]
	s_cbranch_execz .LBB7_92
; %bb.91:
	v_bfe_u32 v0, v1, 16, 1
	s_waitcnt lgkmcnt(0)
	s_movk_i32 s8, 0x7fff
	v_add3_u32 v17, v1, v0, s8
.LBB7_92:
	s_andn2_saveexec_b64 s[2:3], s[2:3]
; %bb.93:
	v_mov_b32_e32 v0, 0
	v_or_b32_e32 v17, 0x10000, v1
	v_cmp_eq_u32_sdwa vcc, v1, v0 src0_sel:WORD_0 src1_sel:DWORD
	s_nop 1
	v_cndmask_b32_e32 v17, v17, v1, vcc
; %bb.94:
	s_or_b64 exec, exec, s[2:3]
	s_mov_b32 s2, 0x7f800000
	v_and_b32_e32 v0, 0x7f800000, v2
	v_cmp_ne_u32_e32 vcc, s2, v0
                                        ; implicit-def: $vgpr18
	s_and_saveexec_b64 s[2:3], vcc
	s_xor_b64 s[2:3], exec, s[2:3]
	s_cbranch_execz .LBB7_96
; %bb.95:
	v_bfe_u32 v0, v2, 16, 1
	s_waitcnt lgkmcnt(0)
	s_movk_i32 s8, 0x7fff
	v_add3_u32 v18, v2, v0, s8
.LBB7_96:
	s_andn2_saveexec_b64 s[2:3], s[2:3]
; %bb.97:
	v_mov_b32_e32 v0, 0
	v_or_b32_e32 v1, 0x10000, v2
	v_cmp_eq_u32_sdwa vcc, v2, v0 src0_sel:WORD_0 src1_sel:DWORD
	s_nop 1
	v_cndmask_b32_e32 v18, v1, v2, vcc
; %bb.98:
	s_or_b64 exec, exec, s[2:3]
	s_mov_b32 s2, 0x7f800000
	v_and_b32_e32 v0, 0x7f800000, v3
	v_cmp_ne_u32_e32 vcc, s2, v0
                                        ; implicit-def: $vgpr19
	s_and_saveexec_b64 s[2:3], vcc
	s_xor_b64 s[2:3], exec, s[2:3]
	s_cbranch_execz .LBB7_100
; %bb.99:
	v_bfe_u32 v0, v3, 16, 1
	s_waitcnt lgkmcnt(0)
	s_movk_i32 s8, 0x7fff
	v_add3_u32 v19, v3, v0, s8
.LBB7_100:
	s_andn2_saveexec_b64 s[2:3], s[2:3]
; %bb.101:
	v_mov_b32_e32 v0, 0
	v_or_b32_e32 v1, 0x10000, v3
	v_cmp_eq_u32_sdwa vcc, v3, v0 src0_sel:WORD_0 src1_sel:DWORD
	s_nop 1
	v_cndmask_b32_e32 v19, v1, v3, vcc
; %bb.102:
	s_or_b64 exec, exec, s[2:3]
	s_mov_b32 s2, 0x7f800000
	v_and_b32_e32 v0, 0x7f800000, v4
	v_cmp_ne_u32_e32 vcc, s2, v0
                                        ; implicit-def: $vgpr20
	s_and_saveexec_b64 s[2:3], vcc
	s_xor_b64 s[2:3], exec, s[2:3]
	s_cbranch_execz .LBB7_104
; %bb.103:
	v_bfe_u32 v0, v4, 16, 1
	s_waitcnt lgkmcnt(0)
	s_movk_i32 s8, 0x7fff
	v_add3_u32 v20, v4, v0, s8
.LBB7_104:
	s_andn2_saveexec_b64 s[2:3], s[2:3]
; %bb.105:
	v_mov_b32_e32 v0, 0
	v_or_b32_e32 v1, 0x10000, v4
	v_cmp_eq_u32_sdwa vcc, v4, v0 src0_sel:WORD_0 src1_sel:DWORD
	s_nop 1
	v_cndmask_b32_e32 v20, v1, v4, vcc
; %bb.106:
	s_or_b64 exec, exec, s[2:3]
	s_mov_b32 s2, 0x7f800000
	v_and_b32_e32 v0, 0x7f800000, v5
	v_cmp_ne_u32_e32 vcc, s2, v0
                                        ; implicit-def: $vgpr21
	s_and_saveexec_b64 s[2:3], vcc
	s_xor_b64 s[2:3], exec, s[2:3]
	s_cbranch_execz .LBB7_108
; %bb.107:
	v_bfe_u32 v0, v5, 16, 1
	s_waitcnt lgkmcnt(0)
	s_movk_i32 s8, 0x7fff
	v_add3_u32 v21, v5, v0, s8
.LBB7_108:
	s_andn2_saveexec_b64 s[2:3], s[2:3]
; %bb.109:
	v_mov_b32_e32 v0, 0
	v_or_b32_e32 v1, 0x10000, v5
	v_cmp_eq_u32_sdwa vcc, v5, v0 src0_sel:WORD_0 src1_sel:DWORD
	s_nop 1
	v_cndmask_b32_e32 v21, v1, v5, vcc
; %bb.110:
	s_or_b64 exec, exec, s[2:3]
	s_mov_b32 s2, 0x7f800000
	v_and_b32_e32 v0, 0x7f800000, v6
	v_cmp_ne_u32_e32 vcc, s2, v0
                                        ; implicit-def: $vgpr22
	s_and_saveexec_b64 s[2:3], vcc
	s_xor_b64 s[2:3], exec, s[2:3]
	s_cbranch_execz .LBB7_112
; %bb.111:
	v_bfe_u32 v0, v6, 16, 1
	s_waitcnt lgkmcnt(0)
	s_movk_i32 s8, 0x7fff
	v_add3_u32 v22, v6, v0, s8
.LBB7_112:
	s_andn2_saveexec_b64 s[2:3], s[2:3]
; %bb.113:
	v_mov_b32_e32 v0, 0
	v_or_b32_e32 v1, 0x10000, v6
	v_cmp_eq_u32_sdwa vcc, v6, v0 src0_sel:WORD_0 src1_sel:DWORD
	s_nop 1
	v_cndmask_b32_e32 v22, v1, v6, vcc
; %bb.114:
	s_or_b64 exec, exec, s[2:3]
	s_mov_b32 s2, 0x7f800000
	v_and_b32_e32 v0, 0x7f800000, v7
	v_cmp_ne_u32_e32 vcc, s2, v0
                                        ; implicit-def: $vgpr23
	s_and_saveexec_b64 s[2:3], vcc
	s_xor_b64 s[2:3], exec, s[2:3]
	s_cbranch_execz .LBB7_116
; %bb.115:
	v_bfe_u32 v0, v7, 16, 1
	s_waitcnt lgkmcnt(0)
	s_movk_i32 s8, 0x7fff
	v_add3_u32 v23, v7, v0, s8
.LBB7_116:
	s_andn2_saveexec_b64 s[2:3], s[2:3]
; %bb.117:
	v_mov_b32_e32 v0, 0
	v_or_b32_e32 v1, 0x10000, v7
	v_cmp_eq_u32_sdwa vcc, v7, v0 src0_sel:WORD_0 src1_sel:DWORD
	s_nop 1
	v_cndmask_b32_e32 v23, v1, v7, vcc
; %bb.118:
	s_or_b64 exec, exec, s[2:3]
	s_mov_b32 s2, 0x7f800000
	v_and_b32_e32 v0, 0x7f800000, v8
	v_cmp_ne_u32_e32 vcc, s2, v0
                                        ; implicit-def: $vgpr24
	s_and_saveexec_b64 s[2:3], vcc
	s_xor_b64 s[2:3], exec, s[2:3]
	s_cbranch_execz .LBB7_120
; %bb.119:
	v_bfe_u32 v0, v8, 16, 1
	s_waitcnt lgkmcnt(0)
	s_movk_i32 s8, 0x7fff
	v_add3_u32 v24, v8, v0, s8
.LBB7_120:
	s_andn2_saveexec_b64 s[2:3], s[2:3]
; %bb.121:
	v_mov_b32_e32 v0, 0
	v_or_b32_e32 v1, 0x10000, v8
	v_cmp_eq_u32_sdwa vcc, v8, v0 src0_sel:WORD_0 src1_sel:DWORD
	s_nop 1
	v_cndmask_b32_e32 v24, v1, v8, vcc
; %bb.122:
	s_or_b64 exec, exec, s[2:3]
	s_mov_b32 s2, 0x7f800000
	v_and_b32_e32 v0, 0x7f800000, v9
	v_cmp_ne_u32_e32 vcc, s2, v0
                                        ; implicit-def: $vgpr25
	s_and_saveexec_b64 s[2:3], vcc
	s_xor_b64 s[2:3], exec, s[2:3]
	s_cbranch_execz .LBB7_124
; %bb.123:
	v_bfe_u32 v0, v9, 16, 1
	s_waitcnt lgkmcnt(0)
	s_movk_i32 s8, 0x7fff
	v_add3_u32 v25, v9, v0, s8
.LBB7_124:
	s_andn2_saveexec_b64 s[2:3], s[2:3]
; %bb.125:
	v_mov_b32_e32 v0, 0
	v_or_b32_e32 v1, 0x10000, v9
	v_cmp_eq_u32_sdwa vcc, v9, v0 src0_sel:WORD_0 src1_sel:DWORD
	s_nop 1
	v_cndmask_b32_e32 v25, v1, v9, vcc
; %bb.126:
	s_or_b64 exec, exec, s[2:3]
	s_mov_b32 s2, 0x7f800000
	v_and_b32_e32 v0, 0x7f800000, v10
	v_cmp_ne_u32_e32 vcc, s2, v0
                                        ; implicit-def: $vgpr26
	s_and_saveexec_b64 s[2:3], vcc
	s_xor_b64 s[2:3], exec, s[2:3]
	s_cbranch_execz .LBB7_128
; %bb.127:
	v_bfe_u32 v0, v10, 16, 1
	s_waitcnt lgkmcnt(0)
	s_movk_i32 s8, 0x7fff
	v_add3_u32 v26, v10, v0, s8
.LBB7_128:
	s_andn2_saveexec_b64 s[2:3], s[2:3]
; %bb.129:
	v_mov_b32_e32 v0, 0
	v_or_b32_e32 v1, 0x10000, v10
	v_cmp_eq_u32_sdwa vcc, v10, v0 src0_sel:WORD_0 src1_sel:DWORD
	s_nop 1
	v_cndmask_b32_e32 v26, v1, v10, vcc
; %bb.130:
	s_or_b64 exec, exec, s[2:3]
	s_mov_b32 s2, 0x7f800000
	v_and_b32_e32 v0, 0x7f800000, v11
	v_cmp_ne_u32_e32 vcc, s2, v0
                                        ; implicit-def: $vgpr27
	s_and_saveexec_b64 s[2:3], vcc
	s_xor_b64 s[2:3], exec, s[2:3]
	s_cbranch_execz .LBB7_132
; %bb.131:
	v_bfe_u32 v0, v11, 16, 1
	s_waitcnt lgkmcnt(0)
	s_movk_i32 s8, 0x7fff
	v_add3_u32 v27, v11, v0, s8
.LBB7_132:
	s_andn2_saveexec_b64 s[2:3], s[2:3]
; %bb.133:
	v_mov_b32_e32 v0, 0
	v_or_b32_e32 v1, 0x10000, v11
	v_cmp_eq_u32_sdwa vcc, v11, v0 src0_sel:WORD_0 src1_sel:DWORD
	s_nop 1
	v_cndmask_b32_e32 v27, v1, v11, vcc
; %bb.134:
	s_or_b64 exec, exec, s[2:3]
	s_mov_b32 s2, 0x7f800000
	v_and_b32_e32 v0, 0x7f800000, v12
	v_cmp_ne_u32_e32 vcc, s2, v0
                                        ; implicit-def: $vgpr28
	s_and_saveexec_b64 s[2:3], vcc
	s_xor_b64 s[2:3], exec, s[2:3]
	s_cbranch_execz .LBB7_136
; %bb.135:
	v_bfe_u32 v0, v12, 16, 1
	s_waitcnt lgkmcnt(0)
	s_movk_i32 s8, 0x7fff
	v_add3_u32 v28, v12, v0, s8
.LBB7_136:
	s_andn2_saveexec_b64 s[2:3], s[2:3]
; %bb.137:
	v_mov_b32_e32 v0, 0
	v_or_b32_e32 v1, 0x10000, v12
	v_cmp_eq_u32_sdwa vcc, v12, v0 src0_sel:WORD_0 src1_sel:DWORD
	s_nop 1
	v_cndmask_b32_e32 v28, v1, v12, vcc
; %bb.138:
	s_or_b64 exec, exec, s[2:3]
	s_mov_b32 s2, 0x7f800000
	v_and_b32_e32 v0, 0x7f800000, v13
	v_cmp_ne_u32_e32 vcc, s2, v0
                                        ; implicit-def: $vgpr29
	s_and_saveexec_b64 s[2:3], vcc
	s_xor_b64 s[2:3], exec, s[2:3]
	s_cbranch_execz .LBB7_140
; %bb.139:
	v_bfe_u32 v0, v13, 16, 1
	s_waitcnt lgkmcnt(0)
	s_movk_i32 s8, 0x7fff
	v_add3_u32 v29, v13, v0, s8
.LBB7_140:
	s_andn2_saveexec_b64 s[2:3], s[2:3]
; %bb.141:
	v_mov_b32_e32 v0, 0
	v_or_b32_e32 v1, 0x10000, v13
	v_cmp_eq_u32_sdwa vcc, v13, v0 src0_sel:WORD_0 src1_sel:DWORD
	s_nop 1
	v_cndmask_b32_e32 v29, v1, v13, vcc
; %bb.142:
	s_or_b64 exec, exec, s[2:3]
	s_mov_b32 s2, 0x7f800000
	v_and_b32_e32 v0, 0x7f800000, v14
	v_cmp_ne_u32_e32 vcc, s2, v0
                                        ; implicit-def: $vgpr30
	s_and_saveexec_b64 s[2:3], vcc
	s_xor_b64 s[2:3], exec, s[2:3]
	s_cbranch_execz .LBB7_144
; %bb.143:
	v_bfe_u32 v0, v14, 16, 1
	s_waitcnt lgkmcnt(0)
	s_movk_i32 s8, 0x7fff
	v_add3_u32 v30, v14, v0, s8
.LBB7_144:
	s_andn2_saveexec_b64 s[2:3], s[2:3]
; %bb.145:
	v_mov_b32_e32 v0, 0
	v_or_b32_e32 v1, 0x10000, v14
	v_cmp_eq_u32_sdwa vcc, v14, v0 src0_sel:WORD_0 src1_sel:DWORD
	s_nop 1
	v_cndmask_b32_e32 v30, v1, v14, vcc
; %bb.146:
	s_or_b64 exec, exec, s[2:3]
	s_mov_b32 s2, 0x7f800000
	v_and_b32_e32 v0, 0x7f800000, v15
	v_cmp_ne_u32_e32 vcc, s2, v0
                                        ; implicit-def: $vgpr31
	s_and_saveexec_b64 s[2:3], vcc
	s_xor_b64 s[2:3], exec, s[2:3]
	s_cbranch_execz .LBB7_148
; %bb.147:
	v_bfe_u32 v0, v15, 16, 1
	s_waitcnt lgkmcnt(0)
	s_movk_i32 s8, 0x7fff
	v_add3_u32 v31, v15, v0, s8
                                        ; implicit-def: $vgpr0_vgpr1_vgpr2_vgpr3_vgpr4_vgpr5_vgpr6_vgpr7_vgpr8_vgpr9_vgpr10_vgpr11_vgpr12_vgpr13_vgpr14_vgpr15
.LBB7_148:
	s_andn2_saveexec_b64 s[2:3], s[2:3]
; %bb.149:
	v_mov_b32_e32 v0, 0
	v_or_b32_e32 v1, 0x10000, v15
	v_cmp_eq_u32_sdwa vcc, v15, v0 src0_sel:WORD_0 src1_sel:DWORD
	s_nop 1
	v_cndmask_b32_e32 v31, v1, v15, vcc
; %bb.150:
	s_or_b64 exec, exec, s[2:3]
	v_ashrrev_i32_e32 v35, 31, v34
	v_lshlrev_b64 v[0:1], 15, v[32:33]
	s_waitcnt lgkmcnt(0)
	v_lshl_add_u64 v[0:1], s[4:5], 0, v[0:1]
	v_lshlrev_b64 v[2:3], 10, v[34:35]
	v_lshl_add_u64 v[0:1], v[0:1], 0, v[2:3]
	v_lshlrev_b32_e32 v2, 1, v36
	v_mov_b32_e32 v3, 0
	s_mov_b32 s2, 0x7060302
	v_lshl_add_u64 v[4:5], v[0:1], 0, v[2:3]
	v_perm_b32 v3, v23, v22, s2
	v_perm_b32 v2, v21, v20, s2
	;; [unrolled: 1-line block ×4, first 2 shown]
	global_store_dwordx4 v[4:5], v[0:3], off
	s_nop 1
	v_perm_b32 v3, v31, v30, s2
	v_perm_b32 v2, v29, v28, s2
	;; [unrolled: 1-line block ×4, first 2 shown]
	global_store_dwordx4 v[4:5], v[0:3], off offset:16
.LBB7_151:
	s_or_b64 exec, exec, s[0:1]
                                        ; implicit-def: $vgpr32
                                        ; implicit-def: $vgpr34
                                        ; implicit-def: $vgpr36
.LBB7_152:
	s_andn2_saveexec_b64 s[0:1], s[6:7]
	s_cbranch_execz .LBB7_154
; %bb.153:
	v_ashrrev_i32_e32 v35, 31, v34
	v_lshlrev_b64 v[0:1], 15, v[32:33]
	s_waitcnt lgkmcnt(0)
	v_lshl_add_u64 v[0:1], s[4:5], 0, v[0:1]
	v_lshlrev_b64 v[2:3], 10, v[34:35]
	s_mov_b32 s0, 0
	v_lshl_add_u64 v[0:1], v[0:1], 0, v[2:3]
	v_lshlrev_b32_e32 v2, 1, v36
	v_mov_b32_e32 v3, 0
	s_mov_b32 s1, s0
	v_lshl_add_u64 v[4:5], v[0:1], 0, v[2:3]
	s_mov_b32 s2, s0
	s_mov_b32 s3, s0
	v_mov_b64_e32 v[0:1], s[0:1]
	v_mov_b64_e32 v[2:3], s[2:3]
	global_store_dwordx4 v[4:5], v[0:3], off
	global_store_dwordx4 v[4:5], v[0:3], off offset:16
.LBB7_154:
	s_endpgm
.LBB7_155:
	v_bfe_u32 v0, v15, 16, 1
	s_movk_i32 s14, 0x7fff
	v_add3_u32 v35, v15, v0, s14
                                        ; implicit-def: $vgpr0_vgpr1_vgpr2_vgpr3_vgpr4_vgpr5_vgpr6_vgpr7_vgpr8_vgpr9_vgpr10_vgpr11_vgpr12_vgpr13_vgpr14_vgpr15
	s_andn2_saveexec_b64 s[2:3], s[2:3]
	s_cbranch_execz .LBB7_82
.LBB7_156:
	v_mov_b32_e32 v0, 0
	v_or_b32_e32 v1, 0x10000, v15
	v_cmp_eq_u32_sdwa vcc, v15, v0 src0_sel:WORD_0 src1_sel:DWORD
	s_nop 1
	v_cndmask_b32_e32 v35, v1, v15, vcc
	s_or_b64 exec, exec, s[2:3]
	s_and_saveexec_b64 s[2:3], s[0:1]
	s_xor_b64 s[0:1], exec, s[2:3]
	s_cbranch_execz .LBB7_83
.LBB7_157:
	s_trap 2
	; divergent unreachable
                                        ; implicit-def: $vgpr36
                                        ; implicit-def: $vgpr16_vgpr17
                                        ; implicit-def: $vgpr18_vgpr19
                                        ; implicit-def: $vgpr20
                                        ; implicit-def: $vgpr21
                                        ; implicit-def: $vgpr22
                                        ; implicit-def: $vgpr23
                                        ; implicit-def: $vgpr24
                                        ; implicit-def: $vgpr25
                                        ; implicit-def: $vgpr26
                                        ; implicit-def: $vgpr27
                                        ; implicit-def: $vgpr28
                                        ; implicit-def: $vgpr29
                                        ; implicit-def: $vgpr30
                                        ; implicit-def: $vgpr31
                                        ; implicit-def: $vgpr32
                                        ; implicit-def: $vgpr33
                                        ; implicit-def: $vgpr34
                                        ; implicit-def: $vgpr35
	s_andn2_saveexec_b64 s[0:1], s[0:1]
	s_cbranch_execnz .LBB7_84
	s_branch .LBB7_85
	.section	.rodata,"a",@progbits
	.p2align	6, 0x0
	.amdhsa_kernel _ZN4vllm21deepseek_v4_fused_ops47fusedDeepseekV4QNormRopeKVRopeQuantInsertKernelIN3c108BFloat16ELi32EEEvPKT_PS4_S6_PhPKlSA_PKffiiiii
		.amdhsa_group_segment_fixed_size 0
		.amdhsa_private_segment_fixed_size 0
		.amdhsa_kernarg_size 336
		.amdhsa_user_sgpr_count 2
		.amdhsa_user_sgpr_dispatch_ptr 0
		.amdhsa_user_sgpr_queue_ptr 0
		.amdhsa_user_sgpr_kernarg_segment_ptr 1
		.amdhsa_user_sgpr_dispatch_id 0
		.amdhsa_user_sgpr_kernarg_preload_length 0
		.amdhsa_user_sgpr_kernarg_preload_offset 0
		.amdhsa_user_sgpr_private_segment_size 0
		.amdhsa_uses_dynamic_stack 0
		.amdhsa_enable_private_segment 0
		.amdhsa_system_sgpr_workgroup_id_x 1
		.amdhsa_system_sgpr_workgroup_id_y 0
		.amdhsa_system_sgpr_workgroup_id_z 0
		.amdhsa_system_sgpr_workgroup_info 0
		.amdhsa_system_vgpr_workitem_id 0
		.amdhsa_next_free_vgpr 46
		.amdhsa_next_free_sgpr 24
		.amdhsa_accum_offset 48
		.amdhsa_reserve_vcc 1
		.amdhsa_float_round_mode_32 0
		.amdhsa_float_round_mode_16_64 0
		.amdhsa_float_denorm_mode_32 3
		.amdhsa_float_denorm_mode_16_64 3
		.amdhsa_dx10_clamp 1
		.amdhsa_ieee_mode 1
		.amdhsa_fp16_overflow 0
		.amdhsa_tg_split 0
		.amdhsa_exception_fp_ieee_invalid_op 0
		.amdhsa_exception_fp_denorm_src 0
		.amdhsa_exception_fp_ieee_div_zero 0
		.amdhsa_exception_fp_ieee_overflow 0
		.amdhsa_exception_fp_ieee_underflow 0
		.amdhsa_exception_fp_ieee_inexact 0
		.amdhsa_exception_int_div_zero 0
	.end_amdhsa_kernel
	.section	.text._ZN4vllm21deepseek_v4_fused_ops47fusedDeepseekV4QNormRopeKVRopeQuantInsertKernelIN3c108BFloat16ELi32EEEvPKT_PS4_S6_PhPKlSA_PKffiiiii,"axG",@progbits,_ZN4vllm21deepseek_v4_fused_ops47fusedDeepseekV4QNormRopeKVRopeQuantInsertKernelIN3c108BFloat16ELi32EEEvPKT_PS4_S6_PhPKlSA_PKffiiiii,comdat
.Lfunc_end7:
	.size	_ZN4vllm21deepseek_v4_fused_ops47fusedDeepseekV4QNormRopeKVRopeQuantInsertKernelIN3c108BFloat16ELi32EEEvPKT_PS4_S6_PhPKlSA_PKffiiiii, .Lfunc_end7-_ZN4vllm21deepseek_v4_fused_ops47fusedDeepseekV4QNormRopeKVRopeQuantInsertKernelIN3c108BFloat16ELi32EEEvPKT_PS4_S6_PhPKlSA_PKffiiiii
                                        ; -- End function
	.section	.AMDGPU.csdata,"",@progbits
; Kernel info:
; codeLenInByte = 5676
; NumSgprs: 30
; NumVgprs: 46
; NumAgprs: 0
; TotalNumVgprs: 46
; ScratchSize: 0
; MemoryBound: 1
; FloatMode: 240
; IeeeMode: 1
; LDSByteSize: 0 bytes/workgroup (compile time only)
; SGPRBlocks: 3
; VGPRBlocks: 5
; NumSGPRsForWavesPerEU: 30
; NumVGPRsForWavesPerEU: 46
; AccumOffset: 48
; Occupancy: 8
; WaveLimiterHint : 1
; COMPUTE_PGM_RSRC2:SCRATCH_EN: 0
; COMPUTE_PGM_RSRC2:USER_SGPR: 2
; COMPUTE_PGM_RSRC2:TRAP_HANDLER: 0
; COMPUTE_PGM_RSRC2:TGID_X_EN: 1
; COMPUTE_PGM_RSRC2:TGID_Y_EN: 0
; COMPUTE_PGM_RSRC2:TGID_Z_EN: 0
; COMPUTE_PGM_RSRC2:TIDIG_COMP_CNT: 0
; COMPUTE_PGM_RSRC3_GFX90A:ACCUM_OFFSET: 11
; COMPUTE_PGM_RSRC3_GFX90A:TG_SPLIT: 0
	.section	.text._ZN4vllm21deepseek_v4_fused_ops47fusedDeepseekV4QNormRopeKVRopeQuantInsertKernelIN3c108BFloat16ELi64EEEvPKT_PS4_S6_PhPKlSA_PKffiiiii,"axG",@progbits,_ZN4vllm21deepseek_v4_fused_ops47fusedDeepseekV4QNormRopeKVRopeQuantInsertKernelIN3c108BFloat16ELi64EEEvPKT_PS4_S6_PhPKlSA_PKffiiiii,comdat
	.protected	_ZN4vllm21deepseek_v4_fused_ops47fusedDeepseekV4QNormRopeKVRopeQuantInsertKernelIN3c108BFloat16ELi64EEEvPKT_PS4_S6_PhPKlSA_PKffiiiii ; -- Begin function _ZN4vllm21deepseek_v4_fused_ops47fusedDeepseekV4QNormRopeKVRopeQuantInsertKernelIN3c108BFloat16ELi64EEEvPKT_PS4_S6_PhPKlSA_PKffiiiii
	.globl	_ZN4vllm21deepseek_v4_fused_ops47fusedDeepseekV4QNormRopeKVRopeQuantInsertKernelIN3c108BFloat16ELi64EEEvPKT_PS4_S6_PhPKlSA_PKffiiiii
	.p2align	8
	.type	_ZN4vllm21deepseek_v4_fused_ops47fusedDeepseekV4QNormRopeKVRopeQuantInsertKernelIN3c108BFloat16ELi64EEEvPKT_PS4_S6_PhPKlSA_PKffiiiii,@function
_ZN4vllm21deepseek_v4_fused_ops47fusedDeepseekV4QNormRopeKVRopeQuantInsertKernelIN3c108BFloat16ELi64EEEvPKT_PS4_S6_PhPKlSA_PKffiiiii: ; @_ZN4vllm21deepseek_v4_fused_ops47fusedDeepseekV4QNormRopeKVRopeQuantInsertKernelIN3c108BFloat16ELi64EEEvPKT_PS4_S6_PhPKlSA_PKffiiiii
; %bb.0:
	s_load_dword s3, s[0:1], 0x5c
	s_load_dwordx4 s[12:15], s[0:1], 0x38
	v_lshrrev_b32_e32 v1, 5, v0
	s_waitcnt lgkmcnt(0)
	s_bfe_u32 s3, s3, 0xb0005
	s_mul_i32 s2, s2, s3
	v_add_u32_e32 v1, s2, v1
	s_mov_b32 s2, 0x7e07e07f
	v_mul_hi_i32 v2, v1, s2
	v_lshrrev_b32_e32 v3, 31, v2
	v_ashrrev_i32_e32 v2, 5, v2
	v_add_u32_e32 v32, v2, v3
	v_cmp_gt_i32_e32 vcc, s13, v32
	s_and_saveexec_b64 s[2:3], vcc
	s_cbranch_execz .LBB8_154
; %bb.1:
	s_load_dwordx2 s[16:17], s[0:1], 0x48
	v_lshl_add_u32 v2, v32, 6, v32
	v_sub_u32_e32 v34, v1, v2
	v_cmp_ne_u32_e64 s[2:3], 64, v34
	v_cmp_gt_i32_e64 s[4:5], s14, v32
	v_cmp_eq_u32_e32 vcc, 64, v34
	s_or_b64 s[4:5], s[2:3], s[4:5]
	s_and_b64 exec, exec, s[4:5]
	s_cbranch_execz .LBB8_154
; %bb.2:
	s_load_dwordx4 s[8:11], s[0:1], 0x18
	s_load_dwordx2 s[18:19], s[0:1], 0x28
	v_cmp_gt_i32_e64 s[4:5], s15, v34
	s_xor_b64 s[6:7], s[2:3], -1
	v_lshlrev_b32_e32 v0, 4, v0
	s_or_b64 s[6:7], s[6:7], s[4:5]
	v_and_b32_e32 v36, 0x1f0, v0
	v_ashrrev_i32_e32 v33, 31, v32
                                        ; implicit-def: $vgpr9
                                        ; implicit-def: $vgpr17
	s_and_saveexec_b64 s[4:5], s[6:7]
	s_cbranch_execz .LBB8_8
; %bb.3:
                                        ; implicit-def: $vgpr0_vgpr1
	s_and_saveexec_b64 s[20:21], vcc
	s_xor_b64 s[20:21], exec, s[20:21]
	s_cbranch_execz .LBB8_5
; %bb.4:
	s_load_dwordx2 s[22:23], s[0:1], 0x10
	v_lshlrev_b64 v[0:1], 10, v[32:33]
	v_lshlrev_b32_e32 v2, 1, v36
	v_mov_b32_e32 v3, 0
	s_waitcnt lgkmcnt(0)
	v_lshl_add_u64 v[0:1], s[22:23], 0, v[0:1]
	v_lshl_add_u64 v[0:1], v[0:1], 0, v[2:3]
.LBB8_5:
	s_andn2_saveexec_b64 s[20:21], s[20:21]
	s_cbranch_execz .LBB8_7
; %bb.6:
	s_load_dwordx2 s[22:23], s[0:1], 0x0
	v_ashrrev_i32_e32 v35, 31, v34
	v_mad_i64_i32 v[0:1], s[14:15], v32, s15, v[34:35]
	v_lshlrev_b64 v[0:1], 10, v[0:1]
	v_lshl_or_b32 v0, v36, 1, v0
	s_waitcnt lgkmcnt(0)
	v_lshl_add_u64 v[0:1], s[22:23], 0, v[0:1]
.LBB8_7:
	s_or_b64 exec, exec, s[20:21]
	global_load_dwordx4 v[6:9], v[0:1], off
	global_load_dwordx4 v[14:17], v[0:1], off offset:16
.LBB8_8:
	s_or_b64 exec, exec, s[4:5]
	s_load_dwordx2 s[4:5], s[0:1], 0x8
	s_load_dwordx2 s[14:15], s[0:1], 0x30
	s_and_saveexec_b64 s[0:1], s[6:7]
	s_xor_b64 s[6:7], exec, s[0:1]
	s_cbranch_execz .LBB8_152
; %bb.9:
	s_waitcnt vmcnt(1)
	v_and_b32_e32 v1, 0xffff0000, v6
	v_lshlrev_b32_e32 v0, 16, v6
	v_and_b32_e32 v3, 0xffff0000, v7
	v_lshlrev_b32_e32 v2, 16, v7
	;; [unrolled: 2-line block ×4, first 2 shown]
	s_waitcnt vmcnt(0)
	v_and_b32_e32 v9, 0xffff0000, v14
	v_lshlrev_b32_e32 v8, 16, v14
	v_and_b32_e32 v11, 0xffff0000, v15
	v_lshlrev_b32_e32 v10, 16, v15
	;; [unrolled: 2-line block ×4, first 2 shown]
	s_and_saveexec_b64 s[20:21], s[2:3]
	s_cbranch_execz .LBB8_11
; %bb.10:
	v_pk_mul_f32 v[16:17], v[0:1], v[0:1]
	v_pk_mul_f32 v[18:19], v[2:3], v[2:3]
	v_add_f32_e32 v16, v16, v17
	v_add_f32_e32 v16, v18, v16
	v_pk_mul_f32 v[20:21], v[4:5], v[4:5]
	v_add_f32_e32 v16, v19, v16
	v_add_f32_e32 v16, v20, v16
	;; [unrolled: 3-line block ×4, first 2 shown]
	v_pk_mul_f32 v[26:27], v[10:11], v[10:11]
	v_add_f32_e32 v16, v25, v16
	v_mbcnt_lo_u32_b32 v17, -1, 0
	v_add_f32_e32 v16, v26, v16
	v_mbcnt_hi_u32_b32 v17, -1, v17
	v_pk_mul_f32 v[28:29], v[12:13], v[12:13]
	v_add_f32_e32 v16, v27, v16
	v_and_b32_e32 v18, 0x60, v17
	v_add_f32_e32 v16, v28, v16
	v_add_u32_e32 v18, 32, v18
	v_xor_b32_e32 v19, 16, v17
	v_pk_mul_f32 v[30:31], v[14:15], v[14:15]
	v_add_f32_e32 v16, v29, v16
	v_cmp_lt_i32_e64 s[0:1], v19, v18
	v_add_f32_e32 v16, v30, v16
	v_add_f32_e32 v16, v31, v16
	v_cndmask_b32_e64 v19, v17, v19, s[0:1]
	v_lshlrev_b32_e32 v19, 2, v19
	ds_bpermute_b32 v19, v19, v16
	s_waitcnt lgkmcnt(0)
	v_add_f32_e32 v16, v16, v19
	v_xor_b32_e32 v19, 8, v17
	v_cmp_lt_i32_e64 s[0:1], v19, v18
	s_nop 1
	v_cndmask_b32_e64 v19, v17, v19, s[0:1]
	v_lshlrev_b32_e32 v19, 2, v19
	ds_bpermute_b32 v19, v19, v16
	s_waitcnt lgkmcnt(0)
	v_add_f32_e32 v16, v16, v19
	v_xor_b32_e32 v19, 4, v17
	v_cmp_lt_i32_e64 s[0:1], v19, v18
	s_nop 1
	;; [unrolled: 8-line block ×4, first 2 shown]
	v_cndmask_b32_e64 v17, v17, v19, s[0:1]
	v_lshlrev_b32_e32 v17, 2, v17
	ds_bpermute_b32 v17, v17, v16
	s_mov_b32 s0, 0x800000
	s_waitcnt lgkmcnt(0)
	v_add_f32_e32 v16, v16, v17
	v_mov_b32_e32 v17, s12
	v_fmamk_f32 v16, v16, 0x3b000000, v17
	v_mul_f32_e32 v17, 0x4b800000, v16
	v_cmp_gt_f32_e64 s[0:1], s0, v16
	s_nop 1
	v_cndmask_b32_e64 v16, v16, v17, s[0:1]
	v_rsq_f32_e32 v16, v16
	s_nop 0
	v_mul_f32_e32 v17, 0x45800000, v16
	v_cndmask_b32_e64 v16, v16, v17, s[0:1]
	v_pk_mul_f32 v[14:15], v[16:17], v[14:15] op_sel_hi:[0,1]
	v_pk_mul_f32 v[12:13], v[16:17], v[12:13] op_sel_hi:[0,1]
	;; [unrolled: 1-line block ×8, first 2 shown]
.LBB8_11:
	s_or_b64 exec, exec, s[20:21]
	s_movk_i32 s0, 0x1c0
	s_movk_i32 s2, 0x1bf
	v_cmp_gt_u32_e64 s[0:1], s0, v36
	v_cmp_lt_u32_e64 s[2:3], s2, v36
	s_and_saveexec_b64 s[12:13], s[2:3]
	s_cbranch_execnz .LBB8_14
; %bb.12:
	s_or_b64 exec, exec, s[12:13]
	s_and_saveexec_b64 s[2:3], vcc
	s_xor_b64 s[12:13], exec, s[2:3]
	s_cbranch_execnz .LBB8_15
.LBB8_13:
	s_andn2_saveexec_b64 s[0:1], s[12:13]
	s_cbranch_execnz .LBB8_86
	s_branch .LBB8_151
.LBB8_14:
	s_waitcnt lgkmcnt(0)
	v_lshl_add_u64 v[16:17], v[32:33], 3, s[18:19]
	global_load_dwordx2 v[16:17], v[16:17], off
	v_add_u32_e32 v18, 0xfffffe40, v36
	v_mov_b32_e32 v19, 0
	v_lshrrev_b32_e32 v18, 1, v18
	s_waitcnt vmcnt(0)
	v_lshlrev_b64 v[16:17], 8, v[16:17]
	v_lshl_add_u64 v[16:17], s[14:15], 0, v[16:17]
	v_lshl_add_u64 v[16:17], v[18:19], 2, v[16:17]
	global_load_dwordx4 v[20:23], v[16:17], off offset:128
	global_load_dwordx4 v[28:31], v[16:17], off offset:144
	global_load_dwordx4 v[38:41], v[16:17], off
	global_load_dwordx4 v[42:45], v[16:17], off offset:16
	s_waitcnt vmcnt(3)
	v_mul_f32_e32 v16, v1, v20
	v_mul_f32_e32 v17, v0, v20
	;; [unrolled: 1-line block ×8, first 2 shown]
	s_waitcnt vmcnt(2)
	v_mul_f32_e32 v24, v9, v28
	v_mul_f32_e32 v25, v8, v28
	;; [unrolled: 1-line block ×8, first 2 shown]
	s_waitcnt vmcnt(1)
	v_fma_f32 v16, v0, v38, -v16
	v_fmac_f32_e32 v17, v1, v38
	v_fma_f32 v18, v2, v39, -v18
	v_fmac_f32_e32 v19, v3, v39
	;; [unrolled: 2-line block ×4, first 2 shown]
	s_waitcnt vmcnt(0)
	v_fma_f32 v24, v8, v42, -v24
	v_fmac_f32_e32 v25, v9, v42
	v_fma_f32 v26, v10, v43, -v26
	v_fmac_f32_e32 v27, v11, v43
	v_fma_f32 v28, v12, v44, -v28
	v_fmac_f32_e32 v29, v13, v44
	v_fma_f32 v30, v14, v45, -v30
	v_fmac_f32_e32 v31, v15, v45
	v_mov_b64_e32 v[0:1], v[16:17]
	v_mov_b64_e32 v[2:3], v[18:19]
	;; [unrolled: 1-line block ×8, first 2 shown]
	s_or_b64 exec, exec, s[12:13]
	s_and_saveexec_b64 s[2:3], vcc
	s_xor_b64 s[12:13], exec, s[2:3]
	s_cbranch_execz .LBB8_13
.LBB8_15:
	s_waitcnt lgkmcnt(0)
	v_lshl_add_u64 v[16:17], v[32:33], 3, s[10:11]
	global_load_dwordx2 v[16:17], v[16:17], off
	s_waitcnt vmcnt(0)
	v_cmp_lt_i64_e32 vcc, -1, v[16:17]
	s_and_saveexec_b64 s[10:11], vcc
	s_cbranch_execz .LBB8_85
; %bb.16:
	s_ashr_i32 s22, s16, 31
	v_or_b32_e32 v21, s22, v17
	v_mov_b32_e32 v20, 0
	v_cmp_ne_u64_e32 vcc, 0, v[20:21]
                                        ; implicit-def: $vgpr18_vgpr19
	s_and_saveexec_b64 s[2:3], vcc
	s_xor_b64 s[14:15], exec, s[2:3]
	s_cbranch_execz .LBB8_18
; %bb.17:
	s_add_u32 s2, s16, s22
	s_mov_b32 s18, s22
	s_mov_b32 s19, s22
	s_addc_u32 s3, s22, s22
	s_xor_b64 s[20:21], s[2:3], s[18:19]
	v_cvt_f32_u32_e32 v18, s20
	v_cvt_f32_u32_e32 v19, s21
	s_sub_u32 s2, 0, s20
	s_subb_u32 s3, 0, s21
	v_mov_b32_e32 v23, v20
	v_fmamk_f32 v18, v19, 0x4f800000, v18
	v_rcp_f32_e32 v18, v18
	s_nop 0
	v_mul_f32_e32 v18, 0x5f7ffffc, v18
	v_mul_f32_e32 v19, 0x2f800000, v18
	v_trunc_f32_e32 v19, v19
	v_fmamk_f32 v18, v19, 0xcf800000, v18
	v_cvt_u32_f32_e32 v21, v19
	v_cvt_u32_f32_e32 v24, v18
	v_mul_lo_u32 v18, s2, v21
	v_mul_hi_u32 v22, s2, v24
	v_mul_lo_u32 v19, s3, v24
	v_add_u32_e32 v18, v22, v18
	v_mul_lo_u32 v25, s2, v24
	v_add_u32_e32 v26, v18, v19
	v_mul_hi_u32 v19, v24, v26
	v_mul_lo_u32 v18, v24, v26
	v_mul_hi_u32 v22, v24, v25
	v_lshl_add_u64 v[18:19], v[22:23], 0, v[18:19]
	v_mul_hi_u32 v23, v21, v25
	v_mul_lo_u32 v25, v21, v25
	v_add_co_u32_e32 v18, vcc, v18, v25
	v_mul_hi_u32 v22, v21, v26
	s_nop 0
	v_addc_co_u32_e32 v18, vcc, v19, v23, vcc
	v_mov_b32_e32 v19, v20
	s_nop 0
	v_addc_co_u32_e32 v23, vcc, 0, v22, vcc
	v_mul_lo_u32 v22, v21, v26
	v_lshl_add_u64 v[18:19], v[18:19], 0, v[22:23]
	v_add_co_u32_e32 v24, vcc, v24, v18
	v_mul_lo_u32 v22, s2, v24
	s_nop 0
	v_addc_co_u32_e32 v21, vcc, v21, v19, vcc
	v_mul_lo_u32 v18, s2, v21
	v_mul_hi_u32 v19, s2, v24
	v_add_u32_e32 v18, v19, v18
	v_mul_lo_u32 v19, s3, v24
	v_add_u32_e32 v25, v18, v19
	v_mul_hi_u32 v27, v21, v22
	v_mul_lo_u32 v28, v21, v22
	v_mul_hi_u32 v19, v24, v25
	v_mul_lo_u32 v18, v24, v25
	v_mul_hi_u32 v22, v24, v22
	v_mov_b32_e32 v23, v20
	v_lshl_add_u64 v[18:19], v[22:23], 0, v[18:19]
	v_add_co_u32_e32 v18, vcc, v18, v28
	v_mul_hi_u32 v26, v21, v25
	s_nop 0
	v_addc_co_u32_e32 v18, vcc, v19, v27, vcc
	v_mul_lo_u32 v22, v21, v25
	s_nop 0
	v_addc_co_u32_e32 v23, vcc, 0, v26, vcc
	v_mov_b32_e32 v19, v20
	v_lshl_add_u64 v[18:19], v[18:19], 0, v[22:23]
	v_add_co_u32_e32 v26, vcc, v24, v18
	v_ashrrev_i32_e32 v18, 31, v17
	s_nop 0
	v_addc_co_u32_e32 v21, vcc, v21, v19, vcc
	v_mov_b32_e32 v19, v18
	v_lshl_add_u64 v[22:23], v[16:17], 0, v[18:19]
	v_xor_b32_e32 v28, v22, v18
	v_xor_b32_e32 v19, v23, v18
	v_mad_u64_u32 v[22:23], s[2:3], v28, v21, 0
	v_mul_hi_u32 v24, v28, v26
	v_mov_b32_e32 v25, v20
	v_lshl_add_u64 v[22:23], v[24:25], 0, v[22:23]
	v_mad_u64_u32 v[26:27], s[2:3], v19, v26, 0
	v_mad_u64_u32 v[24:25], s[2:3], v19, v21, 0
	v_add_co_u32_e32 v21, vcc, v22, v26
	s_nop 1
	v_addc_co_u32_e32 v22, vcc, v23, v27, vcc
	v_mov_b32_e32 v23, v20
	s_nop 0
	v_addc_co_u32_e32 v25, vcc, 0, v25, vcc
	v_lshl_add_u64 v[20:21], v[22:23], 0, v[24:25]
	v_mul_lo_u32 v24, s21, v20
	v_mul_lo_u32 v25, s20, v21
	v_mad_u64_u32 v[22:23], s[2:3], s20, v20, 0
	v_add3_u32 v26, v23, v25, v24
	v_sub_u32_e32 v23, v19, v26
	v_mov_b32_e32 v24, s21
	v_sub_co_u32_e32 v27, vcc, v28, v22
	s_nop 1
	v_subb_co_u32_e64 v22, s[2:3], v23, v24, vcc
	v_subrev_co_u32_e64 v23, s[2:3], s20, v27
	v_subb_co_u32_e32 v19, vcc, v19, v26, vcc
	s_nop 0
	v_subbrev_co_u32_e64 v22, s[2:3], 0, v22, s[2:3]
	v_cmp_le_u32_e64 s[2:3], s21, v22
	v_cmp_le_u32_e32 vcc, s21, v19
	s_nop 0
	v_cndmask_b32_e64 v24, 0, -1, s[2:3]
	v_cmp_le_u32_e64 s[2:3], s20, v23
	s_nop 1
	v_cndmask_b32_e64 v23, 0, -1, s[2:3]
	v_cmp_eq_u32_e64 s[2:3], s21, v22
	s_nop 1
	v_cndmask_b32_e64 v28, v24, v23, s[2:3]
	v_lshl_add_u64 v[22:23], v[20:21], 0, 2
	v_lshl_add_u64 v[24:25], v[20:21], 0, 1
	v_cmp_ne_u32_e64 s[2:3], 0, v28
	s_nop 1
	v_cndmask_b32_e64 v23, v25, v23, s[2:3]
	v_cndmask_b32_e64 v25, 0, -1, vcc
	v_cmp_le_u32_e32 vcc, s20, v27
	s_nop 1
	v_cndmask_b32_e64 v26, 0, -1, vcc
	v_cmp_eq_u32_e32 vcc, s21, v19
	s_nop 1
	v_cndmask_b32_e32 v19, v25, v26, vcc
	v_cmp_ne_u32_e32 vcc, 0, v19
	s_nop 1
	v_cndmask_b32_e32 v19, v21, v23, vcc
	v_cndmask_b32_e64 v21, v24, v22, s[2:3]
	v_cndmask_b32_e32 v20, v20, v21, vcc
	v_xor_b32_e32 v21, s19, v18
	v_xor_b32_e32 v18, s18, v18
	;; [unrolled: 1-line block ×4, first 2 shown]
	v_sub_co_u32_e32 v18, vcc, v20, v18
	s_nop 1
	v_subb_co_u32_e32 v19, vcc, v19, v21, vcc
.LBB8_18:
	s_andn2_saveexec_b64 s[2:3], s[14:15]
	s_cbranch_execz .LBB8_20
; %bb.19:
	v_cvt_f32_u32_e32 v18, s16
	s_sub_i32 s14, 0, s16
	v_rcp_iflag_f32_e32 v18, v18
	s_nop 0
	v_mul_f32_e32 v18, 0x4f7ffffe, v18
	v_cvt_u32_f32_e32 v18, v18
	v_mul_lo_u32 v19, s14, v18
	v_mul_hi_u32 v19, v18, v19
	v_add_u32_e32 v18, v18, v19
	v_mul_hi_u32 v18, v16, v18
	v_mul_lo_u32 v19, v18, s16
	v_sub_u32_e32 v19, v16, v19
	v_add_u32_e32 v20, 1, v18
	v_subrev_u32_e32 v21, s16, v19
	v_cmp_le_u32_e32 vcc, s16, v19
	s_nop 1
	v_cndmask_b32_e32 v19, v19, v21, vcc
	v_cndmask_b32_e32 v18, v18, v20, vcc
	v_add_u32_e32 v20, 1, v18
	v_cmp_le_u32_e32 vcc, s16, v19
	v_mov_b32_e32 v19, 0
	s_nop 0
	v_cndmask_b32_e32 v18, v18, v20, vcc
.LBB8_20:
	s_or_b64 exec, exec, s[2:3]
	s_mov_b32 s2, 0x7f800000
	v_and_b32_e32 v20, 0x7f800000, v0
	v_cmp_ne_u32_e32 vcc, s2, v20
                                        ; implicit-def: $vgpr20
	s_and_saveexec_b64 s[2:3], vcc
	s_xor_b64 s[2:3], exec, s[2:3]
; %bb.21:
	v_bfe_u32 v20, v0, 16, 1
	s_movk_i32 s14, 0x7fff
	v_add3_u32 v20, v0, v20, s14
; %bb.22:
	s_andn2_saveexec_b64 s[2:3], s[2:3]
; %bb.23:
	v_mov_b32_e32 v20, 0
	v_or_b32_e32 v21, 0x10000, v0
	v_cmp_eq_u32_sdwa vcc, v0, v20 src0_sel:WORD_0 src1_sel:DWORD
	s_nop 1
	v_cndmask_b32_e32 v20, v21, v0, vcc
; %bb.24:
	s_or_b64 exec, exec, s[2:3]
	s_mov_b32 s2, 0x7f800000
	v_and_b32_e32 v0, 0x7f800000, v1
	v_cmp_ne_u32_e32 vcc, s2, v0
                                        ; implicit-def: $vgpr21
	s_and_saveexec_b64 s[2:3], vcc
	s_xor_b64 s[2:3], exec, s[2:3]
; %bb.25:
	v_bfe_u32 v0, v1, 16, 1
	s_movk_i32 s14, 0x7fff
	v_add3_u32 v21, v1, v0, s14
; %bb.26:
	s_andn2_saveexec_b64 s[2:3], s[2:3]
; %bb.27:
	v_mov_b32_e32 v0, 0
	v_or_b32_e32 v21, 0x10000, v1
	v_cmp_eq_u32_sdwa vcc, v1, v0 src0_sel:WORD_0 src1_sel:DWORD
	s_nop 1
	v_cndmask_b32_e32 v21, v21, v1, vcc
; %bb.28:
	s_or_b64 exec, exec, s[2:3]
	s_mov_b32 s2, 0x7f800000
	v_and_b32_e32 v0, 0x7f800000, v2
	v_cmp_ne_u32_e32 vcc, s2, v0
                                        ; implicit-def: $vgpr22
	s_and_saveexec_b64 s[2:3], vcc
	s_xor_b64 s[2:3], exec, s[2:3]
; %bb.29:
	v_bfe_u32 v0, v2, 16, 1
	s_movk_i32 s14, 0x7fff
	v_add3_u32 v22, v2, v0, s14
; %bb.30:
	s_andn2_saveexec_b64 s[2:3], s[2:3]
; %bb.31:
	v_mov_b32_e32 v0, 0
	v_or_b32_e32 v1, 0x10000, v2
	v_cmp_eq_u32_sdwa vcc, v2, v0 src0_sel:WORD_0 src1_sel:DWORD
	s_nop 1
	v_cndmask_b32_e32 v22, v1, v2, vcc
; %bb.32:
	s_or_b64 exec, exec, s[2:3]
	s_mov_b32 s2, 0x7f800000
	v_and_b32_e32 v0, 0x7f800000, v3
	v_cmp_ne_u32_e32 vcc, s2, v0
                                        ; implicit-def: $vgpr23
	s_and_saveexec_b64 s[2:3], vcc
	s_xor_b64 s[2:3], exec, s[2:3]
; %bb.33:
	v_bfe_u32 v0, v3, 16, 1
	s_movk_i32 s14, 0x7fff
	v_add3_u32 v23, v3, v0, s14
; %bb.34:
	s_andn2_saveexec_b64 s[2:3], s[2:3]
; %bb.35:
	v_mov_b32_e32 v0, 0
	v_or_b32_e32 v1, 0x10000, v3
	v_cmp_eq_u32_sdwa vcc, v3, v0 src0_sel:WORD_0 src1_sel:DWORD
	s_nop 1
	v_cndmask_b32_e32 v23, v1, v3, vcc
; %bb.36:
	s_or_b64 exec, exec, s[2:3]
	s_mov_b32 s2, 0x7f800000
	v_and_b32_e32 v0, 0x7f800000, v4
	v_cmp_ne_u32_e32 vcc, s2, v0
                                        ; implicit-def: $vgpr24
	s_and_saveexec_b64 s[2:3], vcc
	s_xor_b64 s[2:3], exec, s[2:3]
; %bb.37:
	v_bfe_u32 v0, v4, 16, 1
	s_movk_i32 s14, 0x7fff
	v_add3_u32 v24, v4, v0, s14
; %bb.38:
	s_andn2_saveexec_b64 s[2:3], s[2:3]
; %bb.39:
	v_mov_b32_e32 v0, 0
	v_or_b32_e32 v1, 0x10000, v4
	v_cmp_eq_u32_sdwa vcc, v4, v0 src0_sel:WORD_0 src1_sel:DWORD
	s_nop 1
	v_cndmask_b32_e32 v24, v1, v4, vcc
; %bb.40:
	s_or_b64 exec, exec, s[2:3]
	s_mov_b32 s2, 0x7f800000
	v_and_b32_e32 v0, 0x7f800000, v5
	v_cmp_ne_u32_e32 vcc, s2, v0
                                        ; implicit-def: $vgpr25
	s_and_saveexec_b64 s[2:3], vcc
	s_xor_b64 s[2:3], exec, s[2:3]
; %bb.41:
	v_bfe_u32 v0, v5, 16, 1
	s_movk_i32 s14, 0x7fff
	v_add3_u32 v25, v5, v0, s14
; %bb.42:
	s_andn2_saveexec_b64 s[2:3], s[2:3]
; %bb.43:
	v_mov_b32_e32 v0, 0
	v_or_b32_e32 v1, 0x10000, v5
	v_cmp_eq_u32_sdwa vcc, v5, v0 src0_sel:WORD_0 src1_sel:DWORD
	s_nop 1
	v_cndmask_b32_e32 v25, v1, v5, vcc
; %bb.44:
	s_or_b64 exec, exec, s[2:3]
	s_mov_b32 s2, 0x7f800000
	v_and_b32_e32 v0, 0x7f800000, v6
	v_cmp_ne_u32_e32 vcc, s2, v0
                                        ; implicit-def: $vgpr26
	s_and_saveexec_b64 s[2:3], vcc
	s_xor_b64 s[2:3], exec, s[2:3]
; %bb.45:
	v_bfe_u32 v0, v6, 16, 1
	s_movk_i32 s14, 0x7fff
	v_add3_u32 v26, v6, v0, s14
; %bb.46:
	s_andn2_saveexec_b64 s[2:3], s[2:3]
; %bb.47:
	v_mov_b32_e32 v0, 0
	v_or_b32_e32 v1, 0x10000, v6
	v_cmp_eq_u32_sdwa vcc, v6, v0 src0_sel:WORD_0 src1_sel:DWORD
	s_nop 1
	v_cndmask_b32_e32 v26, v1, v6, vcc
; %bb.48:
	s_or_b64 exec, exec, s[2:3]
	s_mov_b32 s2, 0x7f800000
	v_and_b32_e32 v0, 0x7f800000, v7
	v_cmp_ne_u32_e32 vcc, s2, v0
                                        ; implicit-def: $vgpr27
	s_and_saveexec_b64 s[2:3], vcc
	s_xor_b64 s[2:3], exec, s[2:3]
; %bb.49:
	v_bfe_u32 v0, v7, 16, 1
	s_movk_i32 s14, 0x7fff
	v_add3_u32 v27, v7, v0, s14
; %bb.50:
	s_andn2_saveexec_b64 s[2:3], s[2:3]
; %bb.51:
	v_mov_b32_e32 v0, 0
	v_or_b32_e32 v1, 0x10000, v7
	v_cmp_eq_u32_sdwa vcc, v7, v0 src0_sel:WORD_0 src1_sel:DWORD
	s_nop 1
	v_cndmask_b32_e32 v27, v1, v7, vcc
; %bb.52:
	s_or_b64 exec, exec, s[2:3]
	s_mov_b32 s2, 0x7f800000
	v_and_b32_e32 v0, 0x7f800000, v8
	v_cmp_ne_u32_e32 vcc, s2, v0
                                        ; implicit-def: $vgpr28
	s_and_saveexec_b64 s[2:3], vcc
	s_xor_b64 s[2:3], exec, s[2:3]
; %bb.53:
	v_bfe_u32 v0, v8, 16, 1
	s_movk_i32 s14, 0x7fff
	v_add3_u32 v28, v8, v0, s14
; %bb.54:
	s_andn2_saveexec_b64 s[2:3], s[2:3]
; %bb.55:
	v_mov_b32_e32 v0, 0
	v_or_b32_e32 v1, 0x10000, v8
	v_cmp_eq_u32_sdwa vcc, v8, v0 src0_sel:WORD_0 src1_sel:DWORD
	s_nop 1
	v_cndmask_b32_e32 v28, v1, v8, vcc
; %bb.56:
	s_or_b64 exec, exec, s[2:3]
	s_mov_b32 s2, 0x7f800000
	v_and_b32_e32 v0, 0x7f800000, v9
	v_cmp_ne_u32_e32 vcc, s2, v0
                                        ; implicit-def: $vgpr29
	s_and_saveexec_b64 s[2:3], vcc
	s_xor_b64 s[2:3], exec, s[2:3]
; %bb.57:
	v_bfe_u32 v0, v9, 16, 1
	s_movk_i32 s14, 0x7fff
	v_add3_u32 v29, v9, v0, s14
; %bb.58:
	s_andn2_saveexec_b64 s[2:3], s[2:3]
; %bb.59:
	v_mov_b32_e32 v0, 0
	v_or_b32_e32 v1, 0x10000, v9
	v_cmp_eq_u32_sdwa vcc, v9, v0 src0_sel:WORD_0 src1_sel:DWORD
	s_nop 1
	v_cndmask_b32_e32 v29, v1, v9, vcc
; %bb.60:
	s_or_b64 exec, exec, s[2:3]
	s_mov_b32 s2, 0x7f800000
	v_and_b32_e32 v0, 0x7f800000, v10
	v_cmp_ne_u32_e32 vcc, s2, v0
                                        ; implicit-def: $vgpr30
	s_and_saveexec_b64 s[2:3], vcc
	s_xor_b64 s[2:3], exec, s[2:3]
; %bb.61:
	v_bfe_u32 v0, v10, 16, 1
	s_movk_i32 s14, 0x7fff
	v_add3_u32 v30, v10, v0, s14
; %bb.62:
	s_andn2_saveexec_b64 s[2:3], s[2:3]
; %bb.63:
	v_mov_b32_e32 v0, 0
	v_or_b32_e32 v1, 0x10000, v10
	v_cmp_eq_u32_sdwa vcc, v10, v0 src0_sel:WORD_0 src1_sel:DWORD
	s_nop 1
	v_cndmask_b32_e32 v30, v1, v10, vcc
; %bb.64:
	s_or_b64 exec, exec, s[2:3]
	s_mov_b32 s2, 0x7f800000
	v_and_b32_e32 v0, 0x7f800000, v11
	v_cmp_ne_u32_e32 vcc, s2, v0
                                        ; implicit-def: $vgpr31
	s_and_saveexec_b64 s[2:3], vcc
	s_xor_b64 s[2:3], exec, s[2:3]
; %bb.65:
	v_bfe_u32 v0, v11, 16, 1
	s_movk_i32 s14, 0x7fff
	v_add3_u32 v31, v11, v0, s14
; %bb.66:
	s_andn2_saveexec_b64 s[2:3], s[2:3]
; %bb.67:
	v_mov_b32_e32 v0, 0
	v_or_b32_e32 v1, 0x10000, v11
	v_cmp_eq_u32_sdwa vcc, v11, v0 src0_sel:WORD_0 src1_sel:DWORD
	s_nop 1
	v_cndmask_b32_e32 v31, v1, v11, vcc
; %bb.68:
	s_or_b64 exec, exec, s[2:3]
	s_mov_b32 s2, 0x7f800000
	v_and_b32_e32 v0, 0x7f800000, v12
	v_cmp_ne_u32_e32 vcc, s2, v0
                                        ; implicit-def: $vgpr32
	s_and_saveexec_b64 s[2:3], vcc
	s_xor_b64 s[2:3], exec, s[2:3]
; %bb.69:
	v_bfe_u32 v0, v12, 16, 1
	s_movk_i32 s14, 0x7fff
	v_add3_u32 v32, v12, v0, s14
; %bb.70:
	s_andn2_saveexec_b64 s[2:3], s[2:3]
; %bb.71:
	v_mov_b32_e32 v0, 0
	v_or_b32_e32 v1, 0x10000, v12
	v_cmp_eq_u32_sdwa vcc, v12, v0 src0_sel:WORD_0 src1_sel:DWORD
	s_nop 1
	v_cndmask_b32_e32 v32, v1, v12, vcc
; %bb.72:
	s_or_b64 exec, exec, s[2:3]
	s_mov_b32 s2, 0x7f800000
	v_and_b32_e32 v0, 0x7f800000, v13
	v_cmp_ne_u32_e32 vcc, s2, v0
                                        ; implicit-def: $vgpr33
	s_and_saveexec_b64 s[2:3], vcc
	s_xor_b64 s[2:3], exec, s[2:3]
; %bb.73:
	v_bfe_u32 v0, v13, 16, 1
	s_movk_i32 s14, 0x7fff
	v_add3_u32 v33, v13, v0, s14
; %bb.74:
	s_andn2_saveexec_b64 s[2:3], s[2:3]
; %bb.75:
	v_mov_b32_e32 v0, 0
	v_or_b32_e32 v1, 0x10000, v13
	v_cmp_eq_u32_sdwa vcc, v13, v0 src0_sel:WORD_0 src1_sel:DWORD
	s_nop 1
	v_cndmask_b32_e32 v33, v1, v13, vcc
; %bb.76:
	s_or_b64 exec, exec, s[2:3]
	s_mov_b32 s2, 0x7f800000
	v_and_b32_e32 v0, 0x7f800000, v14
	v_cmp_ne_u32_e32 vcc, s2, v0
                                        ; implicit-def: $vgpr34
	s_and_saveexec_b64 s[2:3], vcc
	s_xor_b64 s[2:3], exec, s[2:3]
; %bb.77:
	v_bfe_u32 v0, v14, 16, 1
	s_movk_i32 s14, 0x7fff
	v_add3_u32 v34, v14, v0, s14
; %bb.78:
	s_andn2_saveexec_b64 s[2:3], s[2:3]
; %bb.79:
	v_mov_b32_e32 v0, 0
	v_or_b32_e32 v1, 0x10000, v14
	v_cmp_eq_u32_sdwa vcc, v14, v0 src0_sel:WORD_0 src1_sel:DWORD
	s_nop 1
	v_cndmask_b32_e32 v34, v1, v14, vcc
; %bb.80:
	s_or_b64 exec, exec, s[2:3]
	s_mov_b32 s2, 0x7f800000
	v_and_b32_e32 v0, 0x7f800000, v15
	v_cmp_ne_u32_e32 vcc, s2, v0
                                        ; implicit-def: $vgpr35
	s_and_saveexec_b64 s[2:3], vcc
	s_xor_b64 s[2:3], exec, s[2:3]
	s_cbranch_execnz .LBB8_155
; %bb.81:
	s_andn2_saveexec_b64 s[2:3], s[2:3]
	s_cbranch_execnz .LBB8_156
.LBB8_82:
	s_or_b64 exec, exec, s[2:3]
	s_and_saveexec_b64 s[2:3], s[0:1]
	s_xor_b64 s[0:1], exec, s[2:3]
	s_cbranch_execnz .LBB8_157
.LBB8_83:
	s_andn2_saveexec_b64 s[0:1], s[0:1]
	s_cbranch_execz .LBB8_85
.LBB8_84:
	v_mul_lo_u32 v2, v19, s16
	v_mul_lo_u32 v3, v18, s22
	v_mad_u64_u32 v[0:1], s[0:1], v18, s16, 0
	v_add3_u32 v1, v1, v3, v2
	v_sub_co_u32_e32 v2, vcc, v16, v0
	s_ashr_i32 s2, s17, 31
	s_nop 0
	v_subb_co_u32_e32 v3, vcc, v17, v1, vcc
	v_mov_b64_e32 v[0:1], s[8:9]
	v_mad_u64_u32 v[0:1], s[0:1], v18, s17, v[0:1]
	v_mul_lo_u32 v4, v19, s17
	v_mul_lo_u32 v5, v18, s2
	v_add3_u32 v1, v4, v1, v5
	s_movk_i32 s2, 0x240
	v_mad_u64_u32 v[0:1], s[0:1], v2, s2, v[0:1]
	v_mov_b32_e32 v2, v1
	v_mad_u64_u32 v[2:3], s[0:1], v3, s2, v[2:3]
	v_mov_b32_e32 v1, v2
	v_lshlrev_b32_e32 v2, 1, v36
	v_mov_b32_e32 v3, 0
	s_mov_b32 s0, 0x7060302
	v_lshl_add_u64 v[4:5], v[0:1], 0, v[2:3]
	v_perm_b32 v3, v27, v26, s0
	v_perm_b32 v2, v25, v24, s0
	;; [unrolled: 1-line block ×4, first 2 shown]
	global_store_dwordx4 v[4:5], v[0:3], off offset:-448
	s_nop 1
	v_perm_b32 v3, v35, v34, s0
	v_perm_b32 v2, v33, v32, s0
	;; [unrolled: 1-line block ×4, first 2 shown]
	global_store_dwordx4 v[4:5], v[0:3], off offset:-432
.LBB8_85:
	s_or_b64 exec, exec, s[10:11]
                                        ; implicit-def: $vgpr32
                                        ; implicit-def: $vgpr34
                                        ; implicit-def: $vgpr36
                                        ; implicit-def: $vgpr0_vgpr1_vgpr2_vgpr3_vgpr4_vgpr5_vgpr6_vgpr7_vgpr8_vgpr9_vgpr10_vgpr11_vgpr12_vgpr13_vgpr14_vgpr15
	s_andn2_saveexec_b64 s[0:1], s[12:13]
	s_cbranch_execz .LBB8_151
.LBB8_86:
	s_mov_b32 s2, 0x7f800000
	v_and_b32_e32 v16, 0x7f800000, v0
	v_cmp_ne_u32_e32 vcc, s2, v16
                                        ; implicit-def: $vgpr16
	s_and_saveexec_b64 s[2:3], vcc
	s_xor_b64 s[2:3], exec, s[2:3]
	s_cbranch_execz .LBB8_88
; %bb.87:
	v_bfe_u32 v16, v0, 16, 1
	s_waitcnt lgkmcnt(0)
	s_movk_i32 s8, 0x7fff
	v_add3_u32 v16, v0, v16, s8
.LBB8_88:
	s_andn2_saveexec_b64 s[2:3], s[2:3]
; %bb.89:
	v_mov_b32_e32 v16, 0
	v_or_b32_e32 v17, 0x10000, v0
	v_cmp_eq_u32_sdwa vcc, v0, v16 src0_sel:WORD_0 src1_sel:DWORD
	s_nop 1
	v_cndmask_b32_e32 v16, v17, v0, vcc
; %bb.90:
	s_or_b64 exec, exec, s[2:3]
	s_mov_b32 s2, 0x7f800000
	v_and_b32_e32 v0, 0x7f800000, v1
	v_cmp_ne_u32_e32 vcc, s2, v0
                                        ; implicit-def: $vgpr17
	s_and_saveexec_b64 s[2:3], vcc
	s_xor_b64 s[2:3], exec, s[2:3]
	s_cbranch_execz .LBB8_92
; %bb.91:
	v_bfe_u32 v0, v1, 16, 1
	s_waitcnt lgkmcnt(0)
	s_movk_i32 s8, 0x7fff
	v_add3_u32 v17, v1, v0, s8
.LBB8_92:
	s_andn2_saveexec_b64 s[2:3], s[2:3]
; %bb.93:
	v_mov_b32_e32 v0, 0
	v_or_b32_e32 v17, 0x10000, v1
	v_cmp_eq_u32_sdwa vcc, v1, v0 src0_sel:WORD_0 src1_sel:DWORD
	s_nop 1
	v_cndmask_b32_e32 v17, v17, v1, vcc
; %bb.94:
	s_or_b64 exec, exec, s[2:3]
	s_mov_b32 s2, 0x7f800000
	v_and_b32_e32 v0, 0x7f800000, v2
	v_cmp_ne_u32_e32 vcc, s2, v0
                                        ; implicit-def: $vgpr18
	s_and_saveexec_b64 s[2:3], vcc
	s_xor_b64 s[2:3], exec, s[2:3]
	s_cbranch_execz .LBB8_96
; %bb.95:
	v_bfe_u32 v0, v2, 16, 1
	s_waitcnt lgkmcnt(0)
	s_movk_i32 s8, 0x7fff
	v_add3_u32 v18, v2, v0, s8
.LBB8_96:
	s_andn2_saveexec_b64 s[2:3], s[2:3]
; %bb.97:
	v_mov_b32_e32 v0, 0
	v_or_b32_e32 v1, 0x10000, v2
	v_cmp_eq_u32_sdwa vcc, v2, v0 src0_sel:WORD_0 src1_sel:DWORD
	s_nop 1
	v_cndmask_b32_e32 v18, v1, v2, vcc
; %bb.98:
	s_or_b64 exec, exec, s[2:3]
	s_mov_b32 s2, 0x7f800000
	v_and_b32_e32 v0, 0x7f800000, v3
	v_cmp_ne_u32_e32 vcc, s2, v0
                                        ; implicit-def: $vgpr19
	s_and_saveexec_b64 s[2:3], vcc
	s_xor_b64 s[2:3], exec, s[2:3]
	s_cbranch_execz .LBB8_100
; %bb.99:
	v_bfe_u32 v0, v3, 16, 1
	s_waitcnt lgkmcnt(0)
	s_movk_i32 s8, 0x7fff
	v_add3_u32 v19, v3, v0, s8
.LBB8_100:
	s_andn2_saveexec_b64 s[2:3], s[2:3]
; %bb.101:
	v_mov_b32_e32 v0, 0
	v_or_b32_e32 v1, 0x10000, v3
	v_cmp_eq_u32_sdwa vcc, v3, v0 src0_sel:WORD_0 src1_sel:DWORD
	s_nop 1
	v_cndmask_b32_e32 v19, v1, v3, vcc
; %bb.102:
	s_or_b64 exec, exec, s[2:3]
	s_mov_b32 s2, 0x7f800000
	v_and_b32_e32 v0, 0x7f800000, v4
	v_cmp_ne_u32_e32 vcc, s2, v0
                                        ; implicit-def: $vgpr20
	s_and_saveexec_b64 s[2:3], vcc
	s_xor_b64 s[2:3], exec, s[2:3]
	s_cbranch_execz .LBB8_104
; %bb.103:
	v_bfe_u32 v0, v4, 16, 1
	s_waitcnt lgkmcnt(0)
	s_movk_i32 s8, 0x7fff
	v_add3_u32 v20, v4, v0, s8
.LBB8_104:
	s_andn2_saveexec_b64 s[2:3], s[2:3]
; %bb.105:
	v_mov_b32_e32 v0, 0
	v_or_b32_e32 v1, 0x10000, v4
	v_cmp_eq_u32_sdwa vcc, v4, v0 src0_sel:WORD_0 src1_sel:DWORD
	s_nop 1
	v_cndmask_b32_e32 v20, v1, v4, vcc
; %bb.106:
	s_or_b64 exec, exec, s[2:3]
	s_mov_b32 s2, 0x7f800000
	v_and_b32_e32 v0, 0x7f800000, v5
	v_cmp_ne_u32_e32 vcc, s2, v0
                                        ; implicit-def: $vgpr21
	s_and_saveexec_b64 s[2:3], vcc
	s_xor_b64 s[2:3], exec, s[2:3]
	s_cbranch_execz .LBB8_108
; %bb.107:
	v_bfe_u32 v0, v5, 16, 1
	s_waitcnt lgkmcnt(0)
	s_movk_i32 s8, 0x7fff
	v_add3_u32 v21, v5, v0, s8
.LBB8_108:
	s_andn2_saveexec_b64 s[2:3], s[2:3]
; %bb.109:
	v_mov_b32_e32 v0, 0
	v_or_b32_e32 v1, 0x10000, v5
	v_cmp_eq_u32_sdwa vcc, v5, v0 src0_sel:WORD_0 src1_sel:DWORD
	s_nop 1
	v_cndmask_b32_e32 v21, v1, v5, vcc
; %bb.110:
	s_or_b64 exec, exec, s[2:3]
	s_mov_b32 s2, 0x7f800000
	v_and_b32_e32 v0, 0x7f800000, v6
	v_cmp_ne_u32_e32 vcc, s2, v0
                                        ; implicit-def: $vgpr22
	s_and_saveexec_b64 s[2:3], vcc
	s_xor_b64 s[2:3], exec, s[2:3]
	s_cbranch_execz .LBB8_112
; %bb.111:
	v_bfe_u32 v0, v6, 16, 1
	s_waitcnt lgkmcnt(0)
	s_movk_i32 s8, 0x7fff
	v_add3_u32 v22, v6, v0, s8
.LBB8_112:
	s_andn2_saveexec_b64 s[2:3], s[2:3]
; %bb.113:
	v_mov_b32_e32 v0, 0
	v_or_b32_e32 v1, 0x10000, v6
	v_cmp_eq_u32_sdwa vcc, v6, v0 src0_sel:WORD_0 src1_sel:DWORD
	s_nop 1
	v_cndmask_b32_e32 v22, v1, v6, vcc
; %bb.114:
	s_or_b64 exec, exec, s[2:3]
	s_mov_b32 s2, 0x7f800000
	v_and_b32_e32 v0, 0x7f800000, v7
	v_cmp_ne_u32_e32 vcc, s2, v0
                                        ; implicit-def: $vgpr23
	s_and_saveexec_b64 s[2:3], vcc
	s_xor_b64 s[2:3], exec, s[2:3]
	s_cbranch_execz .LBB8_116
; %bb.115:
	v_bfe_u32 v0, v7, 16, 1
	s_waitcnt lgkmcnt(0)
	s_movk_i32 s8, 0x7fff
	v_add3_u32 v23, v7, v0, s8
.LBB8_116:
	s_andn2_saveexec_b64 s[2:3], s[2:3]
; %bb.117:
	v_mov_b32_e32 v0, 0
	v_or_b32_e32 v1, 0x10000, v7
	v_cmp_eq_u32_sdwa vcc, v7, v0 src0_sel:WORD_0 src1_sel:DWORD
	s_nop 1
	v_cndmask_b32_e32 v23, v1, v7, vcc
; %bb.118:
	s_or_b64 exec, exec, s[2:3]
	s_mov_b32 s2, 0x7f800000
	v_and_b32_e32 v0, 0x7f800000, v8
	v_cmp_ne_u32_e32 vcc, s2, v0
                                        ; implicit-def: $vgpr24
	s_and_saveexec_b64 s[2:3], vcc
	s_xor_b64 s[2:3], exec, s[2:3]
	s_cbranch_execz .LBB8_120
; %bb.119:
	v_bfe_u32 v0, v8, 16, 1
	s_waitcnt lgkmcnt(0)
	s_movk_i32 s8, 0x7fff
	v_add3_u32 v24, v8, v0, s8
.LBB8_120:
	s_andn2_saveexec_b64 s[2:3], s[2:3]
; %bb.121:
	v_mov_b32_e32 v0, 0
	v_or_b32_e32 v1, 0x10000, v8
	v_cmp_eq_u32_sdwa vcc, v8, v0 src0_sel:WORD_0 src1_sel:DWORD
	s_nop 1
	v_cndmask_b32_e32 v24, v1, v8, vcc
; %bb.122:
	s_or_b64 exec, exec, s[2:3]
	s_mov_b32 s2, 0x7f800000
	v_and_b32_e32 v0, 0x7f800000, v9
	v_cmp_ne_u32_e32 vcc, s2, v0
                                        ; implicit-def: $vgpr25
	s_and_saveexec_b64 s[2:3], vcc
	s_xor_b64 s[2:3], exec, s[2:3]
	s_cbranch_execz .LBB8_124
; %bb.123:
	v_bfe_u32 v0, v9, 16, 1
	s_waitcnt lgkmcnt(0)
	s_movk_i32 s8, 0x7fff
	v_add3_u32 v25, v9, v0, s8
.LBB8_124:
	s_andn2_saveexec_b64 s[2:3], s[2:3]
; %bb.125:
	v_mov_b32_e32 v0, 0
	v_or_b32_e32 v1, 0x10000, v9
	v_cmp_eq_u32_sdwa vcc, v9, v0 src0_sel:WORD_0 src1_sel:DWORD
	s_nop 1
	v_cndmask_b32_e32 v25, v1, v9, vcc
; %bb.126:
	s_or_b64 exec, exec, s[2:3]
	s_mov_b32 s2, 0x7f800000
	v_and_b32_e32 v0, 0x7f800000, v10
	v_cmp_ne_u32_e32 vcc, s2, v0
                                        ; implicit-def: $vgpr26
	s_and_saveexec_b64 s[2:3], vcc
	s_xor_b64 s[2:3], exec, s[2:3]
	s_cbranch_execz .LBB8_128
; %bb.127:
	v_bfe_u32 v0, v10, 16, 1
	s_waitcnt lgkmcnt(0)
	s_movk_i32 s8, 0x7fff
	v_add3_u32 v26, v10, v0, s8
.LBB8_128:
	s_andn2_saveexec_b64 s[2:3], s[2:3]
; %bb.129:
	v_mov_b32_e32 v0, 0
	v_or_b32_e32 v1, 0x10000, v10
	v_cmp_eq_u32_sdwa vcc, v10, v0 src0_sel:WORD_0 src1_sel:DWORD
	s_nop 1
	v_cndmask_b32_e32 v26, v1, v10, vcc
; %bb.130:
	s_or_b64 exec, exec, s[2:3]
	s_mov_b32 s2, 0x7f800000
	v_and_b32_e32 v0, 0x7f800000, v11
	v_cmp_ne_u32_e32 vcc, s2, v0
                                        ; implicit-def: $vgpr27
	s_and_saveexec_b64 s[2:3], vcc
	s_xor_b64 s[2:3], exec, s[2:3]
	s_cbranch_execz .LBB8_132
; %bb.131:
	v_bfe_u32 v0, v11, 16, 1
	s_waitcnt lgkmcnt(0)
	s_movk_i32 s8, 0x7fff
	v_add3_u32 v27, v11, v0, s8
.LBB8_132:
	s_andn2_saveexec_b64 s[2:3], s[2:3]
; %bb.133:
	v_mov_b32_e32 v0, 0
	v_or_b32_e32 v1, 0x10000, v11
	v_cmp_eq_u32_sdwa vcc, v11, v0 src0_sel:WORD_0 src1_sel:DWORD
	s_nop 1
	v_cndmask_b32_e32 v27, v1, v11, vcc
; %bb.134:
	s_or_b64 exec, exec, s[2:3]
	s_mov_b32 s2, 0x7f800000
	v_and_b32_e32 v0, 0x7f800000, v12
	v_cmp_ne_u32_e32 vcc, s2, v0
                                        ; implicit-def: $vgpr28
	s_and_saveexec_b64 s[2:3], vcc
	s_xor_b64 s[2:3], exec, s[2:3]
	s_cbranch_execz .LBB8_136
; %bb.135:
	v_bfe_u32 v0, v12, 16, 1
	s_waitcnt lgkmcnt(0)
	s_movk_i32 s8, 0x7fff
	v_add3_u32 v28, v12, v0, s8
.LBB8_136:
	s_andn2_saveexec_b64 s[2:3], s[2:3]
; %bb.137:
	v_mov_b32_e32 v0, 0
	v_or_b32_e32 v1, 0x10000, v12
	v_cmp_eq_u32_sdwa vcc, v12, v0 src0_sel:WORD_0 src1_sel:DWORD
	s_nop 1
	v_cndmask_b32_e32 v28, v1, v12, vcc
; %bb.138:
	s_or_b64 exec, exec, s[2:3]
	s_mov_b32 s2, 0x7f800000
	v_and_b32_e32 v0, 0x7f800000, v13
	v_cmp_ne_u32_e32 vcc, s2, v0
                                        ; implicit-def: $vgpr29
	s_and_saveexec_b64 s[2:3], vcc
	s_xor_b64 s[2:3], exec, s[2:3]
	s_cbranch_execz .LBB8_140
; %bb.139:
	v_bfe_u32 v0, v13, 16, 1
	s_waitcnt lgkmcnt(0)
	s_movk_i32 s8, 0x7fff
	v_add3_u32 v29, v13, v0, s8
.LBB8_140:
	s_andn2_saveexec_b64 s[2:3], s[2:3]
; %bb.141:
	v_mov_b32_e32 v0, 0
	v_or_b32_e32 v1, 0x10000, v13
	v_cmp_eq_u32_sdwa vcc, v13, v0 src0_sel:WORD_0 src1_sel:DWORD
	s_nop 1
	v_cndmask_b32_e32 v29, v1, v13, vcc
; %bb.142:
	s_or_b64 exec, exec, s[2:3]
	s_mov_b32 s2, 0x7f800000
	v_and_b32_e32 v0, 0x7f800000, v14
	v_cmp_ne_u32_e32 vcc, s2, v0
                                        ; implicit-def: $vgpr30
	s_and_saveexec_b64 s[2:3], vcc
	s_xor_b64 s[2:3], exec, s[2:3]
	s_cbranch_execz .LBB8_144
; %bb.143:
	v_bfe_u32 v0, v14, 16, 1
	s_waitcnt lgkmcnt(0)
	s_movk_i32 s8, 0x7fff
	v_add3_u32 v30, v14, v0, s8
.LBB8_144:
	s_andn2_saveexec_b64 s[2:3], s[2:3]
; %bb.145:
	v_mov_b32_e32 v0, 0
	v_or_b32_e32 v1, 0x10000, v14
	v_cmp_eq_u32_sdwa vcc, v14, v0 src0_sel:WORD_0 src1_sel:DWORD
	s_nop 1
	v_cndmask_b32_e32 v30, v1, v14, vcc
; %bb.146:
	s_or_b64 exec, exec, s[2:3]
	s_mov_b32 s2, 0x7f800000
	v_and_b32_e32 v0, 0x7f800000, v15
	v_cmp_ne_u32_e32 vcc, s2, v0
                                        ; implicit-def: $vgpr31
	s_and_saveexec_b64 s[2:3], vcc
	s_xor_b64 s[2:3], exec, s[2:3]
	s_cbranch_execz .LBB8_148
; %bb.147:
	v_bfe_u32 v0, v15, 16, 1
	s_waitcnt lgkmcnt(0)
	s_movk_i32 s8, 0x7fff
	v_add3_u32 v31, v15, v0, s8
                                        ; implicit-def: $vgpr0_vgpr1_vgpr2_vgpr3_vgpr4_vgpr5_vgpr6_vgpr7_vgpr8_vgpr9_vgpr10_vgpr11_vgpr12_vgpr13_vgpr14_vgpr15
.LBB8_148:
	s_andn2_saveexec_b64 s[2:3], s[2:3]
; %bb.149:
	v_mov_b32_e32 v0, 0
	v_or_b32_e32 v1, 0x10000, v15
	v_cmp_eq_u32_sdwa vcc, v15, v0 src0_sel:WORD_0 src1_sel:DWORD
	s_nop 1
	v_cndmask_b32_e32 v31, v1, v15, vcc
; %bb.150:
	s_or_b64 exec, exec, s[2:3]
	v_ashrrev_i32_e32 v35, 31, v34
	v_lshlrev_b64 v[0:1], 16, v[32:33]
	s_waitcnt lgkmcnt(0)
	v_lshl_add_u64 v[0:1], s[4:5], 0, v[0:1]
	v_lshlrev_b64 v[2:3], 10, v[34:35]
	v_lshl_add_u64 v[0:1], v[0:1], 0, v[2:3]
	v_lshlrev_b32_e32 v2, 1, v36
	v_mov_b32_e32 v3, 0
	s_mov_b32 s2, 0x7060302
	v_lshl_add_u64 v[4:5], v[0:1], 0, v[2:3]
	v_perm_b32 v3, v23, v22, s2
	v_perm_b32 v2, v21, v20, s2
	;; [unrolled: 1-line block ×4, first 2 shown]
	global_store_dwordx4 v[4:5], v[0:3], off
	s_nop 1
	v_perm_b32 v3, v31, v30, s2
	v_perm_b32 v2, v29, v28, s2
	;; [unrolled: 1-line block ×4, first 2 shown]
	global_store_dwordx4 v[4:5], v[0:3], off offset:16
.LBB8_151:
	s_or_b64 exec, exec, s[0:1]
                                        ; implicit-def: $vgpr32
                                        ; implicit-def: $vgpr34
                                        ; implicit-def: $vgpr36
.LBB8_152:
	s_andn2_saveexec_b64 s[0:1], s[6:7]
	s_cbranch_execz .LBB8_154
; %bb.153:
	v_ashrrev_i32_e32 v35, 31, v34
	v_lshlrev_b64 v[0:1], 16, v[32:33]
	s_waitcnt lgkmcnt(0)
	v_lshl_add_u64 v[0:1], s[4:5], 0, v[0:1]
	v_lshlrev_b64 v[2:3], 10, v[34:35]
	s_mov_b32 s0, 0
	v_lshl_add_u64 v[0:1], v[0:1], 0, v[2:3]
	v_lshlrev_b32_e32 v2, 1, v36
	v_mov_b32_e32 v3, 0
	s_mov_b32 s1, s0
	v_lshl_add_u64 v[4:5], v[0:1], 0, v[2:3]
	s_mov_b32 s2, s0
	s_mov_b32 s3, s0
	v_mov_b64_e32 v[0:1], s[0:1]
	v_mov_b64_e32 v[2:3], s[2:3]
	global_store_dwordx4 v[4:5], v[0:3], off
	global_store_dwordx4 v[4:5], v[0:3], off offset:16
.LBB8_154:
	s_endpgm
.LBB8_155:
	v_bfe_u32 v0, v15, 16, 1
	s_movk_i32 s14, 0x7fff
	v_add3_u32 v35, v15, v0, s14
                                        ; implicit-def: $vgpr0_vgpr1_vgpr2_vgpr3_vgpr4_vgpr5_vgpr6_vgpr7_vgpr8_vgpr9_vgpr10_vgpr11_vgpr12_vgpr13_vgpr14_vgpr15
	s_andn2_saveexec_b64 s[2:3], s[2:3]
	s_cbranch_execz .LBB8_82
.LBB8_156:
	v_mov_b32_e32 v0, 0
	v_or_b32_e32 v1, 0x10000, v15
	v_cmp_eq_u32_sdwa vcc, v15, v0 src0_sel:WORD_0 src1_sel:DWORD
	s_nop 1
	v_cndmask_b32_e32 v35, v1, v15, vcc
	s_or_b64 exec, exec, s[2:3]
	s_and_saveexec_b64 s[2:3], s[0:1]
	s_xor_b64 s[0:1], exec, s[2:3]
	s_cbranch_execz .LBB8_83
.LBB8_157:
	s_trap 2
	; divergent unreachable
                                        ; implicit-def: $vgpr36
                                        ; implicit-def: $vgpr16_vgpr17
                                        ; implicit-def: $vgpr18_vgpr19
                                        ; implicit-def: $vgpr20
                                        ; implicit-def: $vgpr21
                                        ; implicit-def: $vgpr22
                                        ; implicit-def: $vgpr23
                                        ; implicit-def: $vgpr24
                                        ; implicit-def: $vgpr25
                                        ; implicit-def: $vgpr26
                                        ; implicit-def: $vgpr27
                                        ; implicit-def: $vgpr28
                                        ; implicit-def: $vgpr29
                                        ; implicit-def: $vgpr30
                                        ; implicit-def: $vgpr31
                                        ; implicit-def: $vgpr32
                                        ; implicit-def: $vgpr33
                                        ; implicit-def: $vgpr34
                                        ; implicit-def: $vgpr35
	s_andn2_saveexec_b64 s[0:1], s[0:1]
	s_cbranch_execnz .LBB8_84
	s_branch .LBB8_85
	.section	.rodata,"a",@progbits
	.p2align	6, 0x0
	.amdhsa_kernel _ZN4vllm21deepseek_v4_fused_ops47fusedDeepseekV4QNormRopeKVRopeQuantInsertKernelIN3c108BFloat16ELi64EEEvPKT_PS4_S6_PhPKlSA_PKffiiiii
		.amdhsa_group_segment_fixed_size 0
		.amdhsa_private_segment_fixed_size 0
		.amdhsa_kernarg_size 336
		.amdhsa_user_sgpr_count 2
		.amdhsa_user_sgpr_dispatch_ptr 0
		.amdhsa_user_sgpr_queue_ptr 0
		.amdhsa_user_sgpr_kernarg_segment_ptr 1
		.amdhsa_user_sgpr_dispatch_id 0
		.amdhsa_user_sgpr_kernarg_preload_length 0
		.amdhsa_user_sgpr_kernarg_preload_offset 0
		.amdhsa_user_sgpr_private_segment_size 0
		.amdhsa_uses_dynamic_stack 0
		.amdhsa_enable_private_segment 0
		.amdhsa_system_sgpr_workgroup_id_x 1
		.amdhsa_system_sgpr_workgroup_id_y 0
		.amdhsa_system_sgpr_workgroup_id_z 0
		.amdhsa_system_sgpr_workgroup_info 0
		.amdhsa_system_vgpr_workitem_id 0
		.amdhsa_next_free_vgpr 46
		.amdhsa_next_free_sgpr 24
		.amdhsa_accum_offset 48
		.amdhsa_reserve_vcc 1
		.amdhsa_float_round_mode_32 0
		.amdhsa_float_round_mode_16_64 0
		.amdhsa_float_denorm_mode_32 3
		.amdhsa_float_denorm_mode_16_64 3
		.amdhsa_dx10_clamp 1
		.amdhsa_ieee_mode 1
		.amdhsa_fp16_overflow 0
		.amdhsa_tg_split 0
		.amdhsa_exception_fp_ieee_invalid_op 0
		.amdhsa_exception_fp_denorm_src 0
		.amdhsa_exception_fp_ieee_div_zero 0
		.amdhsa_exception_fp_ieee_overflow 0
		.amdhsa_exception_fp_ieee_underflow 0
		.amdhsa_exception_fp_ieee_inexact 0
		.amdhsa_exception_int_div_zero 0
	.end_amdhsa_kernel
	.section	.text._ZN4vllm21deepseek_v4_fused_ops47fusedDeepseekV4QNormRopeKVRopeQuantInsertKernelIN3c108BFloat16ELi64EEEvPKT_PS4_S6_PhPKlSA_PKffiiiii,"axG",@progbits,_ZN4vllm21deepseek_v4_fused_ops47fusedDeepseekV4QNormRopeKVRopeQuantInsertKernelIN3c108BFloat16ELi64EEEvPKT_PS4_S6_PhPKlSA_PKffiiiii,comdat
.Lfunc_end8:
	.size	_ZN4vllm21deepseek_v4_fused_ops47fusedDeepseekV4QNormRopeKVRopeQuantInsertKernelIN3c108BFloat16ELi64EEEvPKT_PS4_S6_PhPKlSA_PKffiiiii, .Lfunc_end8-_ZN4vllm21deepseek_v4_fused_ops47fusedDeepseekV4QNormRopeKVRopeQuantInsertKernelIN3c108BFloat16ELi64EEEvPKT_PS4_S6_PhPKlSA_PKffiiiii
                                        ; -- End function
	.section	.AMDGPU.csdata,"",@progbits
; Kernel info:
; codeLenInByte = 5676
; NumSgprs: 30
; NumVgprs: 46
; NumAgprs: 0
; TotalNumVgprs: 46
; ScratchSize: 0
; MemoryBound: 1
; FloatMode: 240
; IeeeMode: 1
; LDSByteSize: 0 bytes/workgroup (compile time only)
; SGPRBlocks: 3
; VGPRBlocks: 5
; NumSGPRsForWavesPerEU: 30
; NumVGPRsForWavesPerEU: 46
; AccumOffset: 48
; Occupancy: 8
; WaveLimiterHint : 1
; COMPUTE_PGM_RSRC2:SCRATCH_EN: 0
; COMPUTE_PGM_RSRC2:USER_SGPR: 2
; COMPUTE_PGM_RSRC2:TRAP_HANDLER: 0
; COMPUTE_PGM_RSRC2:TGID_X_EN: 1
; COMPUTE_PGM_RSRC2:TGID_Y_EN: 0
; COMPUTE_PGM_RSRC2:TGID_Z_EN: 0
; COMPUTE_PGM_RSRC2:TIDIG_COMP_CNT: 0
; COMPUTE_PGM_RSRC3_GFX90A:ACCUM_OFFSET: 11
; COMPUTE_PGM_RSRC3_GFX90A:TG_SPLIT: 0
	.section	.text._ZN4vllm21deepseek_v4_fused_ops47fusedDeepseekV4QNormRopeKVRopeQuantInsertKernelIN3c108BFloat16ELi128EEEvPKT_PS4_S6_PhPKlSA_PKffiiiii,"axG",@progbits,_ZN4vllm21deepseek_v4_fused_ops47fusedDeepseekV4QNormRopeKVRopeQuantInsertKernelIN3c108BFloat16ELi128EEEvPKT_PS4_S6_PhPKlSA_PKffiiiii,comdat
	.protected	_ZN4vllm21deepseek_v4_fused_ops47fusedDeepseekV4QNormRopeKVRopeQuantInsertKernelIN3c108BFloat16ELi128EEEvPKT_PS4_S6_PhPKlSA_PKffiiiii ; -- Begin function _ZN4vllm21deepseek_v4_fused_ops47fusedDeepseekV4QNormRopeKVRopeQuantInsertKernelIN3c108BFloat16ELi128EEEvPKT_PS4_S6_PhPKlSA_PKffiiiii
	.globl	_ZN4vllm21deepseek_v4_fused_ops47fusedDeepseekV4QNormRopeKVRopeQuantInsertKernelIN3c108BFloat16ELi128EEEvPKT_PS4_S6_PhPKlSA_PKffiiiii
	.p2align	8
	.type	_ZN4vllm21deepseek_v4_fused_ops47fusedDeepseekV4QNormRopeKVRopeQuantInsertKernelIN3c108BFloat16ELi128EEEvPKT_PS4_S6_PhPKlSA_PKffiiiii,@function
_ZN4vllm21deepseek_v4_fused_ops47fusedDeepseekV4QNormRopeKVRopeQuantInsertKernelIN3c108BFloat16ELi128EEEvPKT_PS4_S6_PhPKlSA_PKffiiiii: ; @_ZN4vllm21deepseek_v4_fused_ops47fusedDeepseekV4QNormRopeKVRopeQuantInsertKernelIN3c108BFloat16ELi128EEEvPKT_PS4_S6_PhPKlSA_PKffiiiii
; %bb.0:
	s_load_dword s3, s[0:1], 0x5c
	s_load_dwordx4 s[12:15], s[0:1], 0x38
	v_lshrrev_b32_e32 v1, 5, v0
	s_waitcnt lgkmcnt(0)
	s_bfe_u32 s3, s3, 0xb0005
	s_mul_i32 s2, s2, s3
	v_add_u32_e32 v1, s2, v1
	s_mov_b32 s2, 0xfe03f81
	v_mul_hi_i32 v2, v1, s2
	v_lshrrev_b32_e32 v3, 31, v2
	v_ashrrev_i32_e32 v2, 3, v2
	v_add_u32_e32 v32, v2, v3
	v_cmp_gt_i32_e32 vcc, s13, v32
	s_and_saveexec_b64 s[2:3], vcc
	s_cbranch_execz .LBB9_154
; %bb.1:
	s_load_dwordx2 s[16:17], s[0:1], 0x48
	v_lshl_add_u32 v2, v32, 7, v32
	v_sub_u32_e32 v34, v1, v2
	s_movk_i32 s2, 0x80
	v_cmp_eq_u32_e32 vcc, s2, v34
	v_cmp_ne_u32_e64 s[2:3], s2, v34
	v_cmp_gt_i32_e64 s[4:5], s14, v32
	s_or_b64 s[4:5], s[2:3], s[4:5]
	s_and_b64 exec, exec, s[4:5]
	s_cbranch_execz .LBB9_154
; %bb.2:
	s_load_dwordx4 s[8:11], s[0:1], 0x18
	s_load_dwordx2 s[18:19], s[0:1], 0x28
	v_cmp_gt_i32_e64 s[4:5], s15, v34
	s_xor_b64 s[6:7], s[2:3], -1
	v_lshlrev_b32_e32 v0, 4, v0
	s_or_b64 s[6:7], s[6:7], s[4:5]
	v_and_b32_e32 v36, 0x1f0, v0
	v_ashrrev_i32_e32 v33, 31, v32
                                        ; implicit-def: $vgpr9
                                        ; implicit-def: $vgpr17
	s_and_saveexec_b64 s[4:5], s[6:7]
	s_cbranch_execz .LBB9_8
; %bb.3:
                                        ; implicit-def: $vgpr0_vgpr1
	s_and_saveexec_b64 s[20:21], vcc
	s_xor_b64 s[20:21], exec, s[20:21]
	s_cbranch_execz .LBB9_5
; %bb.4:
	s_load_dwordx2 s[22:23], s[0:1], 0x10
	v_lshlrev_b64 v[0:1], 10, v[32:33]
	v_lshlrev_b32_e32 v2, 1, v36
	v_mov_b32_e32 v3, 0
	s_waitcnt lgkmcnt(0)
	v_lshl_add_u64 v[0:1], s[22:23], 0, v[0:1]
	v_lshl_add_u64 v[0:1], v[0:1], 0, v[2:3]
.LBB9_5:
	s_andn2_saveexec_b64 s[20:21], s[20:21]
	s_cbranch_execz .LBB9_7
; %bb.6:
	s_load_dwordx2 s[22:23], s[0:1], 0x0
	v_ashrrev_i32_e32 v35, 31, v34
	v_mad_i64_i32 v[0:1], s[14:15], v32, s15, v[34:35]
	v_lshlrev_b64 v[0:1], 10, v[0:1]
	v_lshl_or_b32 v0, v36, 1, v0
	s_waitcnt lgkmcnt(0)
	v_lshl_add_u64 v[0:1], s[22:23], 0, v[0:1]
.LBB9_7:
	s_or_b64 exec, exec, s[20:21]
	global_load_dwordx4 v[6:9], v[0:1], off
	global_load_dwordx4 v[14:17], v[0:1], off offset:16
.LBB9_8:
	s_or_b64 exec, exec, s[4:5]
	s_load_dwordx2 s[4:5], s[0:1], 0x8
	s_load_dwordx2 s[14:15], s[0:1], 0x30
	s_and_saveexec_b64 s[0:1], s[6:7]
	s_xor_b64 s[6:7], exec, s[0:1]
	s_cbranch_execz .LBB9_152
; %bb.9:
	s_waitcnt vmcnt(1)
	v_and_b32_e32 v1, 0xffff0000, v6
	v_lshlrev_b32_e32 v0, 16, v6
	v_and_b32_e32 v3, 0xffff0000, v7
	v_lshlrev_b32_e32 v2, 16, v7
	;; [unrolled: 2-line block ×4, first 2 shown]
	s_waitcnt vmcnt(0)
	v_and_b32_e32 v9, 0xffff0000, v14
	v_lshlrev_b32_e32 v8, 16, v14
	v_and_b32_e32 v11, 0xffff0000, v15
	v_lshlrev_b32_e32 v10, 16, v15
	;; [unrolled: 2-line block ×4, first 2 shown]
	s_and_saveexec_b64 s[20:21], s[2:3]
	s_cbranch_execz .LBB9_11
; %bb.10:
	v_pk_mul_f32 v[16:17], v[0:1], v[0:1]
	v_pk_mul_f32 v[18:19], v[2:3], v[2:3]
	v_add_f32_e32 v16, v16, v17
	v_add_f32_e32 v16, v18, v16
	v_pk_mul_f32 v[20:21], v[4:5], v[4:5]
	v_add_f32_e32 v16, v19, v16
	v_add_f32_e32 v16, v20, v16
	;; [unrolled: 3-line block ×4, first 2 shown]
	v_pk_mul_f32 v[26:27], v[10:11], v[10:11]
	v_add_f32_e32 v16, v25, v16
	v_mbcnt_lo_u32_b32 v17, -1, 0
	v_add_f32_e32 v16, v26, v16
	v_mbcnt_hi_u32_b32 v17, -1, v17
	v_pk_mul_f32 v[28:29], v[12:13], v[12:13]
	v_add_f32_e32 v16, v27, v16
	v_and_b32_e32 v18, 0x60, v17
	v_add_f32_e32 v16, v28, v16
	v_add_u32_e32 v18, 32, v18
	v_xor_b32_e32 v19, 16, v17
	v_pk_mul_f32 v[30:31], v[14:15], v[14:15]
	v_add_f32_e32 v16, v29, v16
	v_cmp_lt_i32_e64 s[0:1], v19, v18
	v_add_f32_e32 v16, v30, v16
	v_add_f32_e32 v16, v31, v16
	v_cndmask_b32_e64 v19, v17, v19, s[0:1]
	v_lshlrev_b32_e32 v19, 2, v19
	ds_bpermute_b32 v19, v19, v16
	s_waitcnt lgkmcnt(0)
	v_add_f32_e32 v16, v16, v19
	v_xor_b32_e32 v19, 8, v17
	v_cmp_lt_i32_e64 s[0:1], v19, v18
	s_nop 1
	v_cndmask_b32_e64 v19, v17, v19, s[0:1]
	v_lshlrev_b32_e32 v19, 2, v19
	ds_bpermute_b32 v19, v19, v16
	s_waitcnt lgkmcnt(0)
	v_add_f32_e32 v16, v16, v19
	v_xor_b32_e32 v19, 4, v17
	v_cmp_lt_i32_e64 s[0:1], v19, v18
	s_nop 1
	;; [unrolled: 8-line block ×4, first 2 shown]
	v_cndmask_b32_e64 v17, v17, v19, s[0:1]
	v_lshlrev_b32_e32 v17, 2, v17
	ds_bpermute_b32 v17, v17, v16
	s_mov_b32 s0, 0x800000
	s_waitcnt lgkmcnt(0)
	v_add_f32_e32 v16, v16, v17
	v_mov_b32_e32 v17, s12
	v_fmamk_f32 v16, v16, 0x3b000000, v17
	v_mul_f32_e32 v17, 0x4b800000, v16
	v_cmp_gt_f32_e64 s[0:1], s0, v16
	s_nop 1
	v_cndmask_b32_e64 v16, v16, v17, s[0:1]
	v_rsq_f32_e32 v16, v16
	s_nop 0
	v_mul_f32_e32 v17, 0x45800000, v16
	v_cndmask_b32_e64 v16, v16, v17, s[0:1]
	v_pk_mul_f32 v[14:15], v[16:17], v[14:15] op_sel_hi:[0,1]
	v_pk_mul_f32 v[12:13], v[16:17], v[12:13] op_sel_hi:[0,1]
	;; [unrolled: 1-line block ×8, first 2 shown]
.LBB9_11:
	s_or_b64 exec, exec, s[20:21]
	s_movk_i32 s0, 0x1c0
	s_movk_i32 s2, 0x1bf
	v_cmp_gt_u32_e64 s[0:1], s0, v36
	v_cmp_lt_u32_e64 s[2:3], s2, v36
	s_and_saveexec_b64 s[12:13], s[2:3]
	s_cbranch_execnz .LBB9_14
; %bb.12:
	s_or_b64 exec, exec, s[12:13]
	s_and_saveexec_b64 s[2:3], vcc
	s_xor_b64 s[12:13], exec, s[2:3]
	s_cbranch_execnz .LBB9_15
.LBB9_13:
	s_andn2_saveexec_b64 s[0:1], s[12:13]
	s_cbranch_execnz .LBB9_86
	s_branch .LBB9_151
.LBB9_14:
	s_waitcnt lgkmcnt(0)
	v_lshl_add_u64 v[16:17], v[32:33], 3, s[18:19]
	global_load_dwordx2 v[16:17], v[16:17], off
	v_add_u32_e32 v18, 0xfffffe40, v36
	v_mov_b32_e32 v19, 0
	v_lshrrev_b32_e32 v18, 1, v18
	s_waitcnt vmcnt(0)
	v_lshlrev_b64 v[16:17], 8, v[16:17]
	v_lshl_add_u64 v[16:17], s[14:15], 0, v[16:17]
	v_lshl_add_u64 v[16:17], v[18:19], 2, v[16:17]
	global_load_dwordx4 v[20:23], v[16:17], off offset:128
	global_load_dwordx4 v[28:31], v[16:17], off offset:144
	global_load_dwordx4 v[38:41], v[16:17], off
	global_load_dwordx4 v[42:45], v[16:17], off offset:16
	s_waitcnt vmcnt(3)
	v_mul_f32_e32 v16, v1, v20
	v_mul_f32_e32 v17, v0, v20
	;; [unrolled: 1-line block ×8, first 2 shown]
	s_waitcnt vmcnt(2)
	v_mul_f32_e32 v24, v9, v28
	v_mul_f32_e32 v25, v8, v28
	;; [unrolled: 1-line block ×8, first 2 shown]
	s_waitcnt vmcnt(1)
	v_fma_f32 v16, v0, v38, -v16
	v_fmac_f32_e32 v17, v1, v38
	v_fma_f32 v18, v2, v39, -v18
	v_fmac_f32_e32 v19, v3, v39
	;; [unrolled: 2-line block ×4, first 2 shown]
	s_waitcnt vmcnt(0)
	v_fma_f32 v24, v8, v42, -v24
	v_fmac_f32_e32 v25, v9, v42
	v_fma_f32 v26, v10, v43, -v26
	v_fmac_f32_e32 v27, v11, v43
	;; [unrolled: 2-line block ×4, first 2 shown]
	v_mov_b64_e32 v[0:1], v[16:17]
	v_mov_b64_e32 v[2:3], v[18:19]
	;; [unrolled: 1-line block ×8, first 2 shown]
	s_or_b64 exec, exec, s[12:13]
	s_and_saveexec_b64 s[2:3], vcc
	s_xor_b64 s[12:13], exec, s[2:3]
	s_cbranch_execz .LBB9_13
.LBB9_15:
	s_waitcnt lgkmcnt(0)
	v_lshl_add_u64 v[16:17], v[32:33], 3, s[10:11]
	global_load_dwordx2 v[16:17], v[16:17], off
	s_waitcnt vmcnt(0)
	v_cmp_lt_i64_e32 vcc, -1, v[16:17]
	s_and_saveexec_b64 s[10:11], vcc
	s_cbranch_execz .LBB9_85
; %bb.16:
	s_ashr_i32 s22, s16, 31
	v_or_b32_e32 v21, s22, v17
	v_mov_b32_e32 v20, 0
	v_cmp_ne_u64_e32 vcc, 0, v[20:21]
                                        ; implicit-def: $vgpr18_vgpr19
	s_and_saveexec_b64 s[2:3], vcc
	s_xor_b64 s[14:15], exec, s[2:3]
	s_cbranch_execz .LBB9_18
; %bb.17:
	s_add_u32 s2, s16, s22
	s_mov_b32 s18, s22
	s_mov_b32 s19, s22
	s_addc_u32 s3, s22, s22
	s_xor_b64 s[20:21], s[2:3], s[18:19]
	v_cvt_f32_u32_e32 v18, s20
	v_cvt_f32_u32_e32 v19, s21
	s_sub_u32 s2, 0, s20
	s_subb_u32 s3, 0, s21
	v_mov_b32_e32 v23, v20
	v_fmamk_f32 v18, v19, 0x4f800000, v18
	v_rcp_f32_e32 v18, v18
	s_nop 0
	v_mul_f32_e32 v18, 0x5f7ffffc, v18
	v_mul_f32_e32 v19, 0x2f800000, v18
	v_trunc_f32_e32 v19, v19
	v_fmamk_f32 v18, v19, 0xcf800000, v18
	v_cvt_u32_f32_e32 v21, v19
	v_cvt_u32_f32_e32 v24, v18
	v_mul_lo_u32 v18, s2, v21
	v_mul_hi_u32 v22, s2, v24
	v_mul_lo_u32 v19, s3, v24
	v_add_u32_e32 v18, v22, v18
	v_mul_lo_u32 v25, s2, v24
	v_add_u32_e32 v26, v18, v19
	v_mul_hi_u32 v19, v24, v26
	v_mul_lo_u32 v18, v24, v26
	v_mul_hi_u32 v22, v24, v25
	v_lshl_add_u64 v[18:19], v[22:23], 0, v[18:19]
	v_mul_hi_u32 v23, v21, v25
	v_mul_lo_u32 v25, v21, v25
	v_add_co_u32_e32 v18, vcc, v18, v25
	v_mul_hi_u32 v22, v21, v26
	s_nop 0
	v_addc_co_u32_e32 v18, vcc, v19, v23, vcc
	v_mov_b32_e32 v19, v20
	s_nop 0
	v_addc_co_u32_e32 v23, vcc, 0, v22, vcc
	v_mul_lo_u32 v22, v21, v26
	v_lshl_add_u64 v[18:19], v[18:19], 0, v[22:23]
	v_add_co_u32_e32 v24, vcc, v24, v18
	v_mul_lo_u32 v22, s2, v24
	s_nop 0
	v_addc_co_u32_e32 v21, vcc, v21, v19, vcc
	v_mul_lo_u32 v18, s2, v21
	v_mul_hi_u32 v19, s2, v24
	v_add_u32_e32 v18, v19, v18
	v_mul_lo_u32 v19, s3, v24
	v_add_u32_e32 v25, v18, v19
	v_mul_hi_u32 v27, v21, v22
	v_mul_lo_u32 v28, v21, v22
	v_mul_hi_u32 v19, v24, v25
	v_mul_lo_u32 v18, v24, v25
	v_mul_hi_u32 v22, v24, v22
	v_mov_b32_e32 v23, v20
	v_lshl_add_u64 v[18:19], v[22:23], 0, v[18:19]
	v_add_co_u32_e32 v18, vcc, v18, v28
	v_mul_hi_u32 v26, v21, v25
	s_nop 0
	v_addc_co_u32_e32 v18, vcc, v19, v27, vcc
	v_mul_lo_u32 v22, v21, v25
	s_nop 0
	v_addc_co_u32_e32 v23, vcc, 0, v26, vcc
	v_mov_b32_e32 v19, v20
	v_lshl_add_u64 v[18:19], v[18:19], 0, v[22:23]
	v_add_co_u32_e32 v26, vcc, v24, v18
	v_ashrrev_i32_e32 v18, 31, v17
	s_nop 0
	v_addc_co_u32_e32 v21, vcc, v21, v19, vcc
	v_mov_b32_e32 v19, v18
	v_lshl_add_u64 v[22:23], v[16:17], 0, v[18:19]
	v_xor_b32_e32 v28, v22, v18
	v_xor_b32_e32 v19, v23, v18
	v_mad_u64_u32 v[22:23], s[2:3], v28, v21, 0
	v_mul_hi_u32 v24, v28, v26
	v_mov_b32_e32 v25, v20
	v_lshl_add_u64 v[22:23], v[24:25], 0, v[22:23]
	v_mad_u64_u32 v[26:27], s[2:3], v19, v26, 0
	v_mad_u64_u32 v[24:25], s[2:3], v19, v21, 0
	v_add_co_u32_e32 v21, vcc, v22, v26
	s_nop 1
	v_addc_co_u32_e32 v22, vcc, v23, v27, vcc
	v_mov_b32_e32 v23, v20
	s_nop 0
	v_addc_co_u32_e32 v25, vcc, 0, v25, vcc
	v_lshl_add_u64 v[20:21], v[22:23], 0, v[24:25]
	v_mul_lo_u32 v24, s21, v20
	v_mul_lo_u32 v25, s20, v21
	v_mad_u64_u32 v[22:23], s[2:3], s20, v20, 0
	v_add3_u32 v26, v23, v25, v24
	v_sub_u32_e32 v23, v19, v26
	v_mov_b32_e32 v24, s21
	v_sub_co_u32_e32 v27, vcc, v28, v22
	s_nop 1
	v_subb_co_u32_e64 v22, s[2:3], v23, v24, vcc
	v_subrev_co_u32_e64 v23, s[2:3], s20, v27
	v_subb_co_u32_e32 v19, vcc, v19, v26, vcc
	s_nop 0
	v_subbrev_co_u32_e64 v22, s[2:3], 0, v22, s[2:3]
	v_cmp_le_u32_e64 s[2:3], s21, v22
	v_cmp_le_u32_e32 vcc, s21, v19
	s_nop 0
	v_cndmask_b32_e64 v24, 0, -1, s[2:3]
	v_cmp_le_u32_e64 s[2:3], s20, v23
	s_nop 1
	v_cndmask_b32_e64 v23, 0, -1, s[2:3]
	v_cmp_eq_u32_e64 s[2:3], s21, v22
	s_nop 1
	v_cndmask_b32_e64 v28, v24, v23, s[2:3]
	v_lshl_add_u64 v[22:23], v[20:21], 0, 2
	v_lshl_add_u64 v[24:25], v[20:21], 0, 1
	v_cmp_ne_u32_e64 s[2:3], 0, v28
	s_nop 1
	v_cndmask_b32_e64 v23, v25, v23, s[2:3]
	v_cndmask_b32_e64 v25, 0, -1, vcc
	v_cmp_le_u32_e32 vcc, s20, v27
	s_nop 1
	v_cndmask_b32_e64 v26, 0, -1, vcc
	v_cmp_eq_u32_e32 vcc, s21, v19
	s_nop 1
	v_cndmask_b32_e32 v19, v25, v26, vcc
	v_cmp_ne_u32_e32 vcc, 0, v19
	s_nop 1
	v_cndmask_b32_e32 v19, v21, v23, vcc
	v_cndmask_b32_e64 v21, v24, v22, s[2:3]
	v_cndmask_b32_e32 v20, v20, v21, vcc
	v_xor_b32_e32 v21, s19, v18
	v_xor_b32_e32 v18, s18, v18
	v_xor_b32_e32 v20, v20, v18
	v_xor_b32_e32 v19, v19, v21
	v_sub_co_u32_e32 v18, vcc, v20, v18
	s_nop 1
	v_subb_co_u32_e32 v19, vcc, v19, v21, vcc
.LBB9_18:
	s_andn2_saveexec_b64 s[2:3], s[14:15]
	s_cbranch_execz .LBB9_20
; %bb.19:
	v_cvt_f32_u32_e32 v18, s16
	s_sub_i32 s14, 0, s16
	v_rcp_iflag_f32_e32 v18, v18
	s_nop 0
	v_mul_f32_e32 v18, 0x4f7ffffe, v18
	v_cvt_u32_f32_e32 v18, v18
	v_mul_lo_u32 v19, s14, v18
	v_mul_hi_u32 v19, v18, v19
	v_add_u32_e32 v18, v18, v19
	v_mul_hi_u32 v18, v16, v18
	v_mul_lo_u32 v19, v18, s16
	v_sub_u32_e32 v19, v16, v19
	v_add_u32_e32 v20, 1, v18
	v_subrev_u32_e32 v21, s16, v19
	v_cmp_le_u32_e32 vcc, s16, v19
	s_nop 1
	v_cndmask_b32_e32 v19, v19, v21, vcc
	v_cndmask_b32_e32 v18, v18, v20, vcc
	v_add_u32_e32 v20, 1, v18
	v_cmp_le_u32_e32 vcc, s16, v19
	v_mov_b32_e32 v19, 0
	s_nop 0
	v_cndmask_b32_e32 v18, v18, v20, vcc
.LBB9_20:
	s_or_b64 exec, exec, s[2:3]
	s_mov_b32 s2, 0x7f800000
	v_and_b32_e32 v20, 0x7f800000, v0
	v_cmp_ne_u32_e32 vcc, s2, v20
                                        ; implicit-def: $vgpr20
	s_and_saveexec_b64 s[2:3], vcc
	s_xor_b64 s[2:3], exec, s[2:3]
; %bb.21:
	v_bfe_u32 v20, v0, 16, 1
	s_movk_i32 s14, 0x7fff
	v_add3_u32 v20, v0, v20, s14
; %bb.22:
	s_andn2_saveexec_b64 s[2:3], s[2:3]
; %bb.23:
	v_mov_b32_e32 v20, 0
	v_or_b32_e32 v21, 0x10000, v0
	v_cmp_eq_u32_sdwa vcc, v0, v20 src0_sel:WORD_0 src1_sel:DWORD
	s_nop 1
	v_cndmask_b32_e32 v20, v21, v0, vcc
; %bb.24:
	s_or_b64 exec, exec, s[2:3]
	s_mov_b32 s2, 0x7f800000
	v_and_b32_e32 v0, 0x7f800000, v1
	v_cmp_ne_u32_e32 vcc, s2, v0
                                        ; implicit-def: $vgpr21
	s_and_saveexec_b64 s[2:3], vcc
	s_xor_b64 s[2:3], exec, s[2:3]
; %bb.25:
	v_bfe_u32 v0, v1, 16, 1
	s_movk_i32 s14, 0x7fff
	v_add3_u32 v21, v1, v0, s14
; %bb.26:
	s_andn2_saveexec_b64 s[2:3], s[2:3]
; %bb.27:
	v_mov_b32_e32 v0, 0
	v_or_b32_e32 v21, 0x10000, v1
	v_cmp_eq_u32_sdwa vcc, v1, v0 src0_sel:WORD_0 src1_sel:DWORD
	s_nop 1
	v_cndmask_b32_e32 v21, v21, v1, vcc
; %bb.28:
	s_or_b64 exec, exec, s[2:3]
	s_mov_b32 s2, 0x7f800000
	v_and_b32_e32 v0, 0x7f800000, v2
	v_cmp_ne_u32_e32 vcc, s2, v0
                                        ; implicit-def: $vgpr22
	s_and_saveexec_b64 s[2:3], vcc
	s_xor_b64 s[2:3], exec, s[2:3]
; %bb.29:
	v_bfe_u32 v0, v2, 16, 1
	s_movk_i32 s14, 0x7fff
	v_add3_u32 v22, v2, v0, s14
; %bb.30:
	s_andn2_saveexec_b64 s[2:3], s[2:3]
; %bb.31:
	v_mov_b32_e32 v0, 0
	v_or_b32_e32 v1, 0x10000, v2
	v_cmp_eq_u32_sdwa vcc, v2, v0 src0_sel:WORD_0 src1_sel:DWORD
	s_nop 1
	v_cndmask_b32_e32 v22, v1, v2, vcc
; %bb.32:
	s_or_b64 exec, exec, s[2:3]
	s_mov_b32 s2, 0x7f800000
	v_and_b32_e32 v0, 0x7f800000, v3
	v_cmp_ne_u32_e32 vcc, s2, v0
                                        ; implicit-def: $vgpr23
	s_and_saveexec_b64 s[2:3], vcc
	s_xor_b64 s[2:3], exec, s[2:3]
; %bb.33:
	v_bfe_u32 v0, v3, 16, 1
	s_movk_i32 s14, 0x7fff
	v_add3_u32 v23, v3, v0, s14
; %bb.34:
	s_andn2_saveexec_b64 s[2:3], s[2:3]
; %bb.35:
	v_mov_b32_e32 v0, 0
	v_or_b32_e32 v1, 0x10000, v3
	v_cmp_eq_u32_sdwa vcc, v3, v0 src0_sel:WORD_0 src1_sel:DWORD
	s_nop 1
	v_cndmask_b32_e32 v23, v1, v3, vcc
; %bb.36:
	s_or_b64 exec, exec, s[2:3]
	s_mov_b32 s2, 0x7f800000
	v_and_b32_e32 v0, 0x7f800000, v4
	v_cmp_ne_u32_e32 vcc, s2, v0
                                        ; implicit-def: $vgpr24
	s_and_saveexec_b64 s[2:3], vcc
	s_xor_b64 s[2:3], exec, s[2:3]
; %bb.37:
	v_bfe_u32 v0, v4, 16, 1
	s_movk_i32 s14, 0x7fff
	v_add3_u32 v24, v4, v0, s14
; %bb.38:
	s_andn2_saveexec_b64 s[2:3], s[2:3]
; %bb.39:
	v_mov_b32_e32 v0, 0
	v_or_b32_e32 v1, 0x10000, v4
	v_cmp_eq_u32_sdwa vcc, v4, v0 src0_sel:WORD_0 src1_sel:DWORD
	s_nop 1
	v_cndmask_b32_e32 v24, v1, v4, vcc
; %bb.40:
	s_or_b64 exec, exec, s[2:3]
	s_mov_b32 s2, 0x7f800000
	v_and_b32_e32 v0, 0x7f800000, v5
	v_cmp_ne_u32_e32 vcc, s2, v0
                                        ; implicit-def: $vgpr25
	s_and_saveexec_b64 s[2:3], vcc
	s_xor_b64 s[2:3], exec, s[2:3]
; %bb.41:
	v_bfe_u32 v0, v5, 16, 1
	s_movk_i32 s14, 0x7fff
	v_add3_u32 v25, v5, v0, s14
; %bb.42:
	s_andn2_saveexec_b64 s[2:3], s[2:3]
; %bb.43:
	v_mov_b32_e32 v0, 0
	v_or_b32_e32 v1, 0x10000, v5
	v_cmp_eq_u32_sdwa vcc, v5, v0 src0_sel:WORD_0 src1_sel:DWORD
	s_nop 1
	v_cndmask_b32_e32 v25, v1, v5, vcc
; %bb.44:
	s_or_b64 exec, exec, s[2:3]
	s_mov_b32 s2, 0x7f800000
	v_and_b32_e32 v0, 0x7f800000, v6
	v_cmp_ne_u32_e32 vcc, s2, v0
                                        ; implicit-def: $vgpr26
	s_and_saveexec_b64 s[2:3], vcc
	s_xor_b64 s[2:3], exec, s[2:3]
; %bb.45:
	v_bfe_u32 v0, v6, 16, 1
	s_movk_i32 s14, 0x7fff
	v_add3_u32 v26, v6, v0, s14
; %bb.46:
	s_andn2_saveexec_b64 s[2:3], s[2:3]
; %bb.47:
	v_mov_b32_e32 v0, 0
	v_or_b32_e32 v1, 0x10000, v6
	v_cmp_eq_u32_sdwa vcc, v6, v0 src0_sel:WORD_0 src1_sel:DWORD
	s_nop 1
	v_cndmask_b32_e32 v26, v1, v6, vcc
; %bb.48:
	s_or_b64 exec, exec, s[2:3]
	s_mov_b32 s2, 0x7f800000
	v_and_b32_e32 v0, 0x7f800000, v7
	v_cmp_ne_u32_e32 vcc, s2, v0
                                        ; implicit-def: $vgpr27
	s_and_saveexec_b64 s[2:3], vcc
	s_xor_b64 s[2:3], exec, s[2:3]
; %bb.49:
	v_bfe_u32 v0, v7, 16, 1
	s_movk_i32 s14, 0x7fff
	v_add3_u32 v27, v7, v0, s14
; %bb.50:
	s_andn2_saveexec_b64 s[2:3], s[2:3]
; %bb.51:
	v_mov_b32_e32 v0, 0
	v_or_b32_e32 v1, 0x10000, v7
	v_cmp_eq_u32_sdwa vcc, v7, v0 src0_sel:WORD_0 src1_sel:DWORD
	s_nop 1
	v_cndmask_b32_e32 v27, v1, v7, vcc
; %bb.52:
	s_or_b64 exec, exec, s[2:3]
	s_mov_b32 s2, 0x7f800000
	v_and_b32_e32 v0, 0x7f800000, v8
	v_cmp_ne_u32_e32 vcc, s2, v0
                                        ; implicit-def: $vgpr28
	s_and_saveexec_b64 s[2:3], vcc
	s_xor_b64 s[2:3], exec, s[2:3]
; %bb.53:
	v_bfe_u32 v0, v8, 16, 1
	s_movk_i32 s14, 0x7fff
	v_add3_u32 v28, v8, v0, s14
; %bb.54:
	s_andn2_saveexec_b64 s[2:3], s[2:3]
; %bb.55:
	v_mov_b32_e32 v0, 0
	v_or_b32_e32 v1, 0x10000, v8
	v_cmp_eq_u32_sdwa vcc, v8, v0 src0_sel:WORD_0 src1_sel:DWORD
	s_nop 1
	v_cndmask_b32_e32 v28, v1, v8, vcc
; %bb.56:
	s_or_b64 exec, exec, s[2:3]
	s_mov_b32 s2, 0x7f800000
	v_and_b32_e32 v0, 0x7f800000, v9
	v_cmp_ne_u32_e32 vcc, s2, v0
                                        ; implicit-def: $vgpr29
	s_and_saveexec_b64 s[2:3], vcc
	s_xor_b64 s[2:3], exec, s[2:3]
; %bb.57:
	v_bfe_u32 v0, v9, 16, 1
	s_movk_i32 s14, 0x7fff
	v_add3_u32 v29, v9, v0, s14
; %bb.58:
	s_andn2_saveexec_b64 s[2:3], s[2:3]
; %bb.59:
	v_mov_b32_e32 v0, 0
	v_or_b32_e32 v1, 0x10000, v9
	v_cmp_eq_u32_sdwa vcc, v9, v0 src0_sel:WORD_0 src1_sel:DWORD
	s_nop 1
	v_cndmask_b32_e32 v29, v1, v9, vcc
; %bb.60:
	s_or_b64 exec, exec, s[2:3]
	s_mov_b32 s2, 0x7f800000
	v_and_b32_e32 v0, 0x7f800000, v10
	v_cmp_ne_u32_e32 vcc, s2, v0
                                        ; implicit-def: $vgpr30
	s_and_saveexec_b64 s[2:3], vcc
	s_xor_b64 s[2:3], exec, s[2:3]
; %bb.61:
	v_bfe_u32 v0, v10, 16, 1
	s_movk_i32 s14, 0x7fff
	v_add3_u32 v30, v10, v0, s14
; %bb.62:
	s_andn2_saveexec_b64 s[2:3], s[2:3]
; %bb.63:
	v_mov_b32_e32 v0, 0
	v_or_b32_e32 v1, 0x10000, v10
	v_cmp_eq_u32_sdwa vcc, v10, v0 src0_sel:WORD_0 src1_sel:DWORD
	s_nop 1
	v_cndmask_b32_e32 v30, v1, v10, vcc
; %bb.64:
	s_or_b64 exec, exec, s[2:3]
	s_mov_b32 s2, 0x7f800000
	v_and_b32_e32 v0, 0x7f800000, v11
	v_cmp_ne_u32_e32 vcc, s2, v0
                                        ; implicit-def: $vgpr31
	s_and_saveexec_b64 s[2:3], vcc
	s_xor_b64 s[2:3], exec, s[2:3]
; %bb.65:
	v_bfe_u32 v0, v11, 16, 1
	s_movk_i32 s14, 0x7fff
	v_add3_u32 v31, v11, v0, s14
; %bb.66:
	s_andn2_saveexec_b64 s[2:3], s[2:3]
; %bb.67:
	v_mov_b32_e32 v0, 0
	v_or_b32_e32 v1, 0x10000, v11
	v_cmp_eq_u32_sdwa vcc, v11, v0 src0_sel:WORD_0 src1_sel:DWORD
	s_nop 1
	v_cndmask_b32_e32 v31, v1, v11, vcc
; %bb.68:
	s_or_b64 exec, exec, s[2:3]
	s_mov_b32 s2, 0x7f800000
	v_and_b32_e32 v0, 0x7f800000, v12
	v_cmp_ne_u32_e32 vcc, s2, v0
                                        ; implicit-def: $vgpr32
	s_and_saveexec_b64 s[2:3], vcc
	s_xor_b64 s[2:3], exec, s[2:3]
; %bb.69:
	v_bfe_u32 v0, v12, 16, 1
	s_movk_i32 s14, 0x7fff
	v_add3_u32 v32, v12, v0, s14
; %bb.70:
	s_andn2_saveexec_b64 s[2:3], s[2:3]
; %bb.71:
	v_mov_b32_e32 v0, 0
	v_or_b32_e32 v1, 0x10000, v12
	v_cmp_eq_u32_sdwa vcc, v12, v0 src0_sel:WORD_0 src1_sel:DWORD
	s_nop 1
	v_cndmask_b32_e32 v32, v1, v12, vcc
; %bb.72:
	s_or_b64 exec, exec, s[2:3]
	s_mov_b32 s2, 0x7f800000
	v_and_b32_e32 v0, 0x7f800000, v13
	v_cmp_ne_u32_e32 vcc, s2, v0
                                        ; implicit-def: $vgpr33
	s_and_saveexec_b64 s[2:3], vcc
	s_xor_b64 s[2:3], exec, s[2:3]
; %bb.73:
	v_bfe_u32 v0, v13, 16, 1
	s_movk_i32 s14, 0x7fff
	v_add3_u32 v33, v13, v0, s14
; %bb.74:
	s_andn2_saveexec_b64 s[2:3], s[2:3]
; %bb.75:
	v_mov_b32_e32 v0, 0
	v_or_b32_e32 v1, 0x10000, v13
	v_cmp_eq_u32_sdwa vcc, v13, v0 src0_sel:WORD_0 src1_sel:DWORD
	s_nop 1
	v_cndmask_b32_e32 v33, v1, v13, vcc
; %bb.76:
	s_or_b64 exec, exec, s[2:3]
	s_mov_b32 s2, 0x7f800000
	v_and_b32_e32 v0, 0x7f800000, v14
	v_cmp_ne_u32_e32 vcc, s2, v0
                                        ; implicit-def: $vgpr34
	s_and_saveexec_b64 s[2:3], vcc
	s_xor_b64 s[2:3], exec, s[2:3]
; %bb.77:
	v_bfe_u32 v0, v14, 16, 1
	s_movk_i32 s14, 0x7fff
	v_add3_u32 v34, v14, v0, s14
; %bb.78:
	s_andn2_saveexec_b64 s[2:3], s[2:3]
; %bb.79:
	v_mov_b32_e32 v0, 0
	v_or_b32_e32 v1, 0x10000, v14
	v_cmp_eq_u32_sdwa vcc, v14, v0 src0_sel:WORD_0 src1_sel:DWORD
	s_nop 1
	v_cndmask_b32_e32 v34, v1, v14, vcc
; %bb.80:
	s_or_b64 exec, exec, s[2:3]
	s_mov_b32 s2, 0x7f800000
	v_and_b32_e32 v0, 0x7f800000, v15
	v_cmp_ne_u32_e32 vcc, s2, v0
                                        ; implicit-def: $vgpr35
	s_and_saveexec_b64 s[2:3], vcc
	s_xor_b64 s[2:3], exec, s[2:3]
	s_cbranch_execnz .LBB9_155
; %bb.81:
	s_andn2_saveexec_b64 s[2:3], s[2:3]
	s_cbranch_execnz .LBB9_156
.LBB9_82:
	s_or_b64 exec, exec, s[2:3]
	s_and_saveexec_b64 s[2:3], s[0:1]
	s_xor_b64 s[0:1], exec, s[2:3]
	s_cbranch_execnz .LBB9_157
.LBB9_83:
	s_andn2_saveexec_b64 s[0:1], s[0:1]
	s_cbranch_execz .LBB9_85
.LBB9_84:
	v_mul_lo_u32 v2, v19, s16
	v_mul_lo_u32 v3, v18, s22
	v_mad_u64_u32 v[0:1], s[0:1], v18, s16, 0
	v_add3_u32 v1, v1, v3, v2
	v_sub_co_u32_e32 v2, vcc, v16, v0
	s_ashr_i32 s2, s17, 31
	s_nop 0
	v_subb_co_u32_e32 v3, vcc, v17, v1, vcc
	v_mov_b64_e32 v[0:1], s[8:9]
	v_mad_u64_u32 v[0:1], s[0:1], v18, s17, v[0:1]
	v_mul_lo_u32 v4, v19, s17
	v_mul_lo_u32 v5, v18, s2
	v_add3_u32 v1, v4, v1, v5
	s_movk_i32 s2, 0x240
	v_mad_u64_u32 v[0:1], s[0:1], v2, s2, v[0:1]
	v_mov_b32_e32 v2, v1
	v_mad_u64_u32 v[2:3], s[0:1], v3, s2, v[2:3]
	v_mov_b32_e32 v1, v2
	v_lshlrev_b32_e32 v2, 1, v36
	v_mov_b32_e32 v3, 0
	s_mov_b32 s0, 0x7060302
	v_lshl_add_u64 v[4:5], v[0:1], 0, v[2:3]
	v_perm_b32 v3, v27, v26, s0
	v_perm_b32 v2, v25, v24, s0
	;; [unrolled: 1-line block ×4, first 2 shown]
	global_store_dwordx4 v[4:5], v[0:3], off offset:-448
	s_nop 1
	v_perm_b32 v3, v35, v34, s0
	v_perm_b32 v2, v33, v32, s0
	;; [unrolled: 1-line block ×4, first 2 shown]
	global_store_dwordx4 v[4:5], v[0:3], off offset:-432
.LBB9_85:
	s_or_b64 exec, exec, s[10:11]
                                        ; implicit-def: $vgpr32
                                        ; implicit-def: $vgpr34
                                        ; implicit-def: $vgpr36
                                        ; implicit-def: $vgpr0_vgpr1_vgpr2_vgpr3_vgpr4_vgpr5_vgpr6_vgpr7_vgpr8_vgpr9_vgpr10_vgpr11_vgpr12_vgpr13_vgpr14_vgpr15
	s_andn2_saveexec_b64 s[0:1], s[12:13]
	s_cbranch_execz .LBB9_151
.LBB9_86:
	s_mov_b32 s2, 0x7f800000
	v_and_b32_e32 v16, 0x7f800000, v0
	v_cmp_ne_u32_e32 vcc, s2, v16
                                        ; implicit-def: $vgpr16
	s_and_saveexec_b64 s[2:3], vcc
	s_xor_b64 s[2:3], exec, s[2:3]
	s_cbranch_execz .LBB9_88
; %bb.87:
	v_bfe_u32 v16, v0, 16, 1
	s_waitcnt lgkmcnt(0)
	s_movk_i32 s8, 0x7fff
	v_add3_u32 v16, v0, v16, s8
.LBB9_88:
	s_andn2_saveexec_b64 s[2:3], s[2:3]
; %bb.89:
	v_mov_b32_e32 v16, 0
	v_or_b32_e32 v17, 0x10000, v0
	v_cmp_eq_u32_sdwa vcc, v0, v16 src0_sel:WORD_0 src1_sel:DWORD
	s_nop 1
	v_cndmask_b32_e32 v16, v17, v0, vcc
; %bb.90:
	s_or_b64 exec, exec, s[2:3]
	s_mov_b32 s2, 0x7f800000
	v_and_b32_e32 v0, 0x7f800000, v1
	v_cmp_ne_u32_e32 vcc, s2, v0
                                        ; implicit-def: $vgpr17
	s_and_saveexec_b64 s[2:3], vcc
	s_xor_b64 s[2:3], exec, s[2:3]
	s_cbranch_execz .LBB9_92
; %bb.91:
	v_bfe_u32 v0, v1, 16, 1
	s_waitcnt lgkmcnt(0)
	s_movk_i32 s8, 0x7fff
	v_add3_u32 v17, v1, v0, s8
.LBB9_92:
	s_andn2_saveexec_b64 s[2:3], s[2:3]
; %bb.93:
	v_mov_b32_e32 v0, 0
	v_or_b32_e32 v17, 0x10000, v1
	v_cmp_eq_u32_sdwa vcc, v1, v0 src0_sel:WORD_0 src1_sel:DWORD
	s_nop 1
	v_cndmask_b32_e32 v17, v17, v1, vcc
; %bb.94:
	s_or_b64 exec, exec, s[2:3]
	s_mov_b32 s2, 0x7f800000
	v_and_b32_e32 v0, 0x7f800000, v2
	v_cmp_ne_u32_e32 vcc, s2, v0
                                        ; implicit-def: $vgpr18
	s_and_saveexec_b64 s[2:3], vcc
	s_xor_b64 s[2:3], exec, s[2:3]
	s_cbranch_execz .LBB9_96
; %bb.95:
	v_bfe_u32 v0, v2, 16, 1
	s_waitcnt lgkmcnt(0)
	s_movk_i32 s8, 0x7fff
	v_add3_u32 v18, v2, v0, s8
.LBB9_96:
	s_andn2_saveexec_b64 s[2:3], s[2:3]
; %bb.97:
	v_mov_b32_e32 v0, 0
	v_or_b32_e32 v1, 0x10000, v2
	v_cmp_eq_u32_sdwa vcc, v2, v0 src0_sel:WORD_0 src1_sel:DWORD
	s_nop 1
	v_cndmask_b32_e32 v18, v1, v2, vcc
; %bb.98:
	s_or_b64 exec, exec, s[2:3]
	s_mov_b32 s2, 0x7f800000
	v_and_b32_e32 v0, 0x7f800000, v3
	v_cmp_ne_u32_e32 vcc, s2, v0
                                        ; implicit-def: $vgpr19
	s_and_saveexec_b64 s[2:3], vcc
	s_xor_b64 s[2:3], exec, s[2:3]
	s_cbranch_execz .LBB9_100
; %bb.99:
	v_bfe_u32 v0, v3, 16, 1
	s_waitcnt lgkmcnt(0)
	s_movk_i32 s8, 0x7fff
	v_add3_u32 v19, v3, v0, s8
.LBB9_100:
	s_andn2_saveexec_b64 s[2:3], s[2:3]
; %bb.101:
	v_mov_b32_e32 v0, 0
	v_or_b32_e32 v1, 0x10000, v3
	v_cmp_eq_u32_sdwa vcc, v3, v0 src0_sel:WORD_0 src1_sel:DWORD
	s_nop 1
	v_cndmask_b32_e32 v19, v1, v3, vcc
; %bb.102:
	s_or_b64 exec, exec, s[2:3]
	s_mov_b32 s2, 0x7f800000
	v_and_b32_e32 v0, 0x7f800000, v4
	v_cmp_ne_u32_e32 vcc, s2, v0
                                        ; implicit-def: $vgpr20
	s_and_saveexec_b64 s[2:3], vcc
	s_xor_b64 s[2:3], exec, s[2:3]
	s_cbranch_execz .LBB9_104
; %bb.103:
	v_bfe_u32 v0, v4, 16, 1
	s_waitcnt lgkmcnt(0)
	s_movk_i32 s8, 0x7fff
	v_add3_u32 v20, v4, v0, s8
.LBB9_104:
	s_andn2_saveexec_b64 s[2:3], s[2:3]
; %bb.105:
	v_mov_b32_e32 v0, 0
	v_or_b32_e32 v1, 0x10000, v4
	v_cmp_eq_u32_sdwa vcc, v4, v0 src0_sel:WORD_0 src1_sel:DWORD
	s_nop 1
	v_cndmask_b32_e32 v20, v1, v4, vcc
; %bb.106:
	s_or_b64 exec, exec, s[2:3]
	s_mov_b32 s2, 0x7f800000
	v_and_b32_e32 v0, 0x7f800000, v5
	v_cmp_ne_u32_e32 vcc, s2, v0
                                        ; implicit-def: $vgpr21
	s_and_saveexec_b64 s[2:3], vcc
	s_xor_b64 s[2:3], exec, s[2:3]
	s_cbranch_execz .LBB9_108
; %bb.107:
	v_bfe_u32 v0, v5, 16, 1
	s_waitcnt lgkmcnt(0)
	s_movk_i32 s8, 0x7fff
	v_add3_u32 v21, v5, v0, s8
.LBB9_108:
	s_andn2_saveexec_b64 s[2:3], s[2:3]
; %bb.109:
	v_mov_b32_e32 v0, 0
	v_or_b32_e32 v1, 0x10000, v5
	v_cmp_eq_u32_sdwa vcc, v5, v0 src0_sel:WORD_0 src1_sel:DWORD
	s_nop 1
	v_cndmask_b32_e32 v21, v1, v5, vcc
; %bb.110:
	s_or_b64 exec, exec, s[2:3]
	s_mov_b32 s2, 0x7f800000
	v_and_b32_e32 v0, 0x7f800000, v6
	v_cmp_ne_u32_e32 vcc, s2, v0
                                        ; implicit-def: $vgpr22
	s_and_saveexec_b64 s[2:3], vcc
	s_xor_b64 s[2:3], exec, s[2:3]
	s_cbranch_execz .LBB9_112
; %bb.111:
	v_bfe_u32 v0, v6, 16, 1
	s_waitcnt lgkmcnt(0)
	s_movk_i32 s8, 0x7fff
	v_add3_u32 v22, v6, v0, s8
.LBB9_112:
	s_andn2_saveexec_b64 s[2:3], s[2:3]
; %bb.113:
	v_mov_b32_e32 v0, 0
	v_or_b32_e32 v1, 0x10000, v6
	v_cmp_eq_u32_sdwa vcc, v6, v0 src0_sel:WORD_0 src1_sel:DWORD
	s_nop 1
	v_cndmask_b32_e32 v22, v1, v6, vcc
; %bb.114:
	s_or_b64 exec, exec, s[2:3]
	s_mov_b32 s2, 0x7f800000
	v_and_b32_e32 v0, 0x7f800000, v7
	v_cmp_ne_u32_e32 vcc, s2, v0
                                        ; implicit-def: $vgpr23
	s_and_saveexec_b64 s[2:3], vcc
	s_xor_b64 s[2:3], exec, s[2:3]
	s_cbranch_execz .LBB9_116
; %bb.115:
	v_bfe_u32 v0, v7, 16, 1
	s_waitcnt lgkmcnt(0)
	s_movk_i32 s8, 0x7fff
	v_add3_u32 v23, v7, v0, s8
.LBB9_116:
	s_andn2_saveexec_b64 s[2:3], s[2:3]
; %bb.117:
	v_mov_b32_e32 v0, 0
	v_or_b32_e32 v1, 0x10000, v7
	v_cmp_eq_u32_sdwa vcc, v7, v0 src0_sel:WORD_0 src1_sel:DWORD
	s_nop 1
	v_cndmask_b32_e32 v23, v1, v7, vcc
; %bb.118:
	s_or_b64 exec, exec, s[2:3]
	s_mov_b32 s2, 0x7f800000
	v_and_b32_e32 v0, 0x7f800000, v8
	v_cmp_ne_u32_e32 vcc, s2, v0
                                        ; implicit-def: $vgpr24
	s_and_saveexec_b64 s[2:3], vcc
	s_xor_b64 s[2:3], exec, s[2:3]
	s_cbranch_execz .LBB9_120
; %bb.119:
	v_bfe_u32 v0, v8, 16, 1
	s_waitcnt lgkmcnt(0)
	s_movk_i32 s8, 0x7fff
	v_add3_u32 v24, v8, v0, s8
.LBB9_120:
	s_andn2_saveexec_b64 s[2:3], s[2:3]
; %bb.121:
	v_mov_b32_e32 v0, 0
	v_or_b32_e32 v1, 0x10000, v8
	v_cmp_eq_u32_sdwa vcc, v8, v0 src0_sel:WORD_0 src1_sel:DWORD
	s_nop 1
	v_cndmask_b32_e32 v24, v1, v8, vcc
; %bb.122:
	s_or_b64 exec, exec, s[2:3]
	s_mov_b32 s2, 0x7f800000
	v_and_b32_e32 v0, 0x7f800000, v9
	v_cmp_ne_u32_e32 vcc, s2, v0
                                        ; implicit-def: $vgpr25
	s_and_saveexec_b64 s[2:3], vcc
	s_xor_b64 s[2:3], exec, s[2:3]
	s_cbranch_execz .LBB9_124
; %bb.123:
	v_bfe_u32 v0, v9, 16, 1
	s_waitcnt lgkmcnt(0)
	s_movk_i32 s8, 0x7fff
	v_add3_u32 v25, v9, v0, s8
.LBB9_124:
	s_andn2_saveexec_b64 s[2:3], s[2:3]
; %bb.125:
	v_mov_b32_e32 v0, 0
	v_or_b32_e32 v1, 0x10000, v9
	v_cmp_eq_u32_sdwa vcc, v9, v0 src0_sel:WORD_0 src1_sel:DWORD
	s_nop 1
	v_cndmask_b32_e32 v25, v1, v9, vcc
; %bb.126:
	s_or_b64 exec, exec, s[2:3]
	s_mov_b32 s2, 0x7f800000
	v_and_b32_e32 v0, 0x7f800000, v10
	v_cmp_ne_u32_e32 vcc, s2, v0
                                        ; implicit-def: $vgpr26
	s_and_saveexec_b64 s[2:3], vcc
	s_xor_b64 s[2:3], exec, s[2:3]
	s_cbranch_execz .LBB9_128
; %bb.127:
	v_bfe_u32 v0, v10, 16, 1
	s_waitcnt lgkmcnt(0)
	s_movk_i32 s8, 0x7fff
	v_add3_u32 v26, v10, v0, s8
.LBB9_128:
	s_andn2_saveexec_b64 s[2:3], s[2:3]
; %bb.129:
	v_mov_b32_e32 v0, 0
	v_or_b32_e32 v1, 0x10000, v10
	v_cmp_eq_u32_sdwa vcc, v10, v0 src0_sel:WORD_0 src1_sel:DWORD
	s_nop 1
	v_cndmask_b32_e32 v26, v1, v10, vcc
; %bb.130:
	s_or_b64 exec, exec, s[2:3]
	s_mov_b32 s2, 0x7f800000
	v_and_b32_e32 v0, 0x7f800000, v11
	v_cmp_ne_u32_e32 vcc, s2, v0
                                        ; implicit-def: $vgpr27
	s_and_saveexec_b64 s[2:3], vcc
	s_xor_b64 s[2:3], exec, s[2:3]
	s_cbranch_execz .LBB9_132
; %bb.131:
	v_bfe_u32 v0, v11, 16, 1
	s_waitcnt lgkmcnt(0)
	s_movk_i32 s8, 0x7fff
	v_add3_u32 v27, v11, v0, s8
.LBB9_132:
	s_andn2_saveexec_b64 s[2:3], s[2:3]
; %bb.133:
	v_mov_b32_e32 v0, 0
	v_or_b32_e32 v1, 0x10000, v11
	v_cmp_eq_u32_sdwa vcc, v11, v0 src0_sel:WORD_0 src1_sel:DWORD
	s_nop 1
	v_cndmask_b32_e32 v27, v1, v11, vcc
; %bb.134:
	s_or_b64 exec, exec, s[2:3]
	s_mov_b32 s2, 0x7f800000
	v_and_b32_e32 v0, 0x7f800000, v12
	v_cmp_ne_u32_e32 vcc, s2, v0
                                        ; implicit-def: $vgpr28
	s_and_saveexec_b64 s[2:3], vcc
	s_xor_b64 s[2:3], exec, s[2:3]
	s_cbranch_execz .LBB9_136
; %bb.135:
	v_bfe_u32 v0, v12, 16, 1
	s_waitcnt lgkmcnt(0)
	s_movk_i32 s8, 0x7fff
	v_add3_u32 v28, v12, v0, s8
.LBB9_136:
	s_andn2_saveexec_b64 s[2:3], s[2:3]
; %bb.137:
	v_mov_b32_e32 v0, 0
	v_or_b32_e32 v1, 0x10000, v12
	v_cmp_eq_u32_sdwa vcc, v12, v0 src0_sel:WORD_0 src1_sel:DWORD
	s_nop 1
	v_cndmask_b32_e32 v28, v1, v12, vcc
; %bb.138:
	s_or_b64 exec, exec, s[2:3]
	s_mov_b32 s2, 0x7f800000
	v_and_b32_e32 v0, 0x7f800000, v13
	v_cmp_ne_u32_e32 vcc, s2, v0
                                        ; implicit-def: $vgpr29
	s_and_saveexec_b64 s[2:3], vcc
	s_xor_b64 s[2:3], exec, s[2:3]
	s_cbranch_execz .LBB9_140
; %bb.139:
	v_bfe_u32 v0, v13, 16, 1
	s_waitcnt lgkmcnt(0)
	s_movk_i32 s8, 0x7fff
	v_add3_u32 v29, v13, v0, s8
.LBB9_140:
	s_andn2_saveexec_b64 s[2:3], s[2:3]
; %bb.141:
	v_mov_b32_e32 v0, 0
	v_or_b32_e32 v1, 0x10000, v13
	v_cmp_eq_u32_sdwa vcc, v13, v0 src0_sel:WORD_0 src1_sel:DWORD
	s_nop 1
	v_cndmask_b32_e32 v29, v1, v13, vcc
; %bb.142:
	s_or_b64 exec, exec, s[2:3]
	s_mov_b32 s2, 0x7f800000
	v_and_b32_e32 v0, 0x7f800000, v14
	v_cmp_ne_u32_e32 vcc, s2, v0
                                        ; implicit-def: $vgpr30
	s_and_saveexec_b64 s[2:3], vcc
	s_xor_b64 s[2:3], exec, s[2:3]
	s_cbranch_execz .LBB9_144
; %bb.143:
	v_bfe_u32 v0, v14, 16, 1
	s_waitcnt lgkmcnt(0)
	s_movk_i32 s8, 0x7fff
	v_add3_u32 v30, v14, v0, s8
.LBB9_144:
	s_andn2_saveexec_b64 s[2:3], s[2:3]
; %bb.145:
	v_mov_b32_e32 v0, 0
	v_or_b32_e32 v1, 0x10000, v14
	v_cmp_eq_u32_sdwa vcc, v14, v0 src0_sel:WORD_0 src1_sel:DWORD
	s_nop 1
	v_cndmask_b32_e32 v30, v1, v14, vcc
; %bb.146:
	s_or_b64 exec, exec, s[2:3]
	s_mov_b32 s2, 0x7f800000
	v_and_b32_e32 v0, 0x7f800000, v15
	v_cmp_ne_u32_e32 vcc, s2, v0
                                        ; implicit-def: $vgpr31
	s_and_saveexec_b64 s[2:3], vcc
	s_xor_b64 s[2:3], exec, s[2:3]
	s_cbranch_execz .LBB9_148
; %bb.147:
	v_bfe_u32 v0, v15, 16, 1
	s_waitcnt lgkmcnt(0)
	s_movk_i32 s8, 0x7fff
	v_add3_u32 v31, v15, v0, s8
                                        ; implicit-def: $vgpr0_vgpr1_vgpr2_vgpr3_vgpr4_vgpr5_vgpr6_vgpr7_vgpr8_vgpr9_vgpr10_vgpr11_vgpr12_vgpr13_vgpr14_vgpr15
.LBB9_148:
	s_andn2_saveexec_b64 s[2:3], s[2:3]
; %bb.149:
	v_mov_b32_e32 v0, 0
	v_or_b32_e32 v1, 0x10000, v15
	v_cmp_eq_u32_sdwa vcc, v15, v0 src0_sel:WORD_0 src1_sel:DWORD
	s_nop 1
	v_cndmask_b32_e32 v31, v1, v15, vcc
; %bb.150:
	s_or_b64 exec, exec, s[2:3]
	v_ashrrev_i32_e32 v35, 31, v34
	v_lshlrev_b64 v[0:1], 17, v[32:33]
	s_waitcnt lgkmcnt(0)
	v_lshl_add_u64 v[0:1], s[4:5], 0, v[0:1]
	v_lshlrev_b64 v[2:3], 10, v[34:35]
	v_lshl_add_u64 v[0:1], v[0:1], 0, v[2:3]
	v_lshlrev_b32_e32 v2, 1, v36
	v_mov_b32_e32 v3, 0
	s_mov_b32 s2, 0x7060302
	v_lshl_add_u64 v[4:5], v[0:1], 0, v[2:3]
	v_perm_b32 v3, v23, v22, s2
	v_perm_b32 v2, v21, v20, s2
	;; [unrolled: 1-line block ×4, first 2 shown]
	global_store_dwordx4 v[4:5], v[0:3], off
	s_nop 1
	v_perm_b32 v3, v31, v30, s2
	v_perm_b32 v2, v29, v28, s2
	;; [unrolled: 1-line block ×4, first 2 shown]
	global_store_dwordx4 v[4:5], v[0:3], off offset:16
.LBB9_151:
	s_or_b64 exec, exec, s[0:1]
                                        ; implicit-def: $vgpr32
                                        ; implicit-def: $vgpr34
                                        ; implicit-def: $vgpr36
.LBB9_152:
	s_andn2_saveexec_b64 s[0:1], s[6:7]
	s_cbranch_execz .LBB9_154
; %bb.153:
	v_ashrrev_i32_e32 v35, 31, v34
	v_lshlrev_b64 v[0:1], 17, v[32:33]
	s_waitcnt lgkmcnt(0)
	v_lshl_add_u64 v[0:1], s[4:5], 0, v[0:1]
	v_lshlrev_b64 v[2:3], 10, v[34:35]
	s_mov_b32 s0, 0
	v_lshl_add_u64 v[0:1], v[0:1], 0, v[2:3]
	v_lshlrev_b32_e32 v2, 1, v36
	v_mov_b32_e32 v3, 0
	s_mov_b32 s1, s0
	v_lshl_add_u64 v[4:5], v[0:1], 0, v[2:3]
	s_mov_b32 s2, s0
	s_mov_b32 s3, s0
	v_mov_b64_e32 v[0:1], s[0:1]
	v_mov_b64_e32 v[2:3], s[2:3]
	global_store_dwordx4 v[4:5], v[0:3], off
	global_store_dwordx4 v[4:5], v[0:3], off offset:16
.LBB9_154:
	s_endpgm
.LBB9_155:
	v_bfe_u32 v0, v15, 16, 1
	s_movk_i32 s14, 0x7fff
	v_add3_u32 v35, v15, v0, s14
                                        ; implicit-def: $vgpr0_vgpr1_vgpr2_vgpr3_vgpr4_vgpr5_vgpr6_vgpr7_vgpr8_vgpr9_vgpr10_vgpr11_vgpr12_vgpr13_vgpr14_vgpr15
	s_andn2_saveexec_b64 s[2:3], s[2:3]
	s_cbranch_execz .LBB9_82
.LBB9_156:
	v_mov_b32_e32 v0, 0
	v_or_b32_e32 v1, 0x10000, v15
	v_cmp_eq_u32_sdwa vcc, v15, v0 src0_sel:WORD_0 src1_sel:DWORD
	s_nop 1
	v_cndmask_b32_e32 v35, v1, v15, vcc
	s_or_b64 exec, exec, s[2:3]
	s_and_saveexec_b64 s[2:3], s[0:1]
	s_xor_b64 s[0:1], exec, s[2:3]
	s_cbranch_execz .LBB9_83
.LBB9_157:
	s_trap 2
	; divergent unreachable
                                        ; implicit-def: $vgpr36
                                        ; implicit-def: $vgpr16_vgpr17
                                        ; implicit-def: $vgpr18_vgpr19
                                        ; implicit-def: $vgpr20
                                        ; implicit-def: $vgpr21
                                        ; implicit-def: $vgpr22
                                        ; implicit-def: $vgpr23
                                        ; implicit-def: $vgpr24
                                        ; implicit-def: $vgpr25
                                        ; implicit-def: $vgpr26
                                        ; implicit-def: $vgpr27
                                        ; implicit-def: $vgpr28
                                        ; implicit-def: $vgpr29
                                        ; implicit-def: $vgpr30
                                        ; implicit-def: $vgpr31
                                        ; implicit-def: $vgpr32
                                        ; implicit-def: $vgpr33
                                        ; implicit-def: $vgpr34
                                        ; implicit-def: $vgpr35
	s_andn2_saveexec_b64 s[0:1], s[0:1]
	s_cbranch_execnz .LBB9_84
	s_branch .LBB9_85
	.section	.rodata,"a",@progbits
	.p2align	6, 0x0
	.amdhsa_kernel _ZN4vllm21deepseek_v4_fused_ops47fusedDeepseekV4QNormRopeKVRopeQuantInsertKernelIN3c108BFloat16ELi128EEEvPKT_PS4_S6_PhPKlSA_PKffiiiii
		.amdhsa_group_segment_fixed_size 0
		.amdhsa_private_segment_fixed_size 0
		.amdhsa_kernarg_size 336
		.amdhsa_user_sgpr_count 2
		.amdhsa_user_sgpr_dispatch_ptr 0
		.amdhsa_user_sgpr_queue_ptr 0
		.amdhsa_user_sgpr_kernarg_segment_ptr 1
		.amdhsa_user_sgpr_dispatch_id 0
		.amdhsa_user_sgpr_kernarg_preload_length 0
		.amdhsa_user_sgpr_kernarg_preload_offset 0
		.amdhsa_user_sgpr_private_segment_size 0
		.amdhsa_uses_dynamic_stack 0
		.amdhsa_enable_private_segment 0
		.amdhsa_system_sgpr_workgroup_id_x 1
		.amdhsa_system_sgpr_workgroup_id_y 0
		.amdhsa_system_sgpr_workgroup_id_z 0
		.amdhsa_system_sgpr_workgroup_info 0
		.amdhsa_system_vgpr_workitem_id 0
		.amdhsa_next_free_vgpr 46
		.amdhsa_next_free_sgpr 24
		.amdhsa_accum_offset 48
		.amdhsa_reserve_vcc 1
		.amdhsa_float_round_mode_32 0
		.amdhsa_float_round_mode_16_64 0
		.amdhsa_float_denorm_mode_32 3
		.amdhsa_float_denorm_mode_16_64 3
		.amdhsa_dx10_clamp 1
		.amdhsa_ieee_mode 1
		.amdhsa_fp16_overflow 0
		.amdhsa_tg_split 0
		.amdhsa_exception_fp_ieee_invalid_op 0
		.amdhsa_exception_fp_denorm_src 0
		.amdhsa_exception_fp_ieee_div_zero 0
		.amdhsa_exception_fp_ieee_overflow 0
		.amdhsa_exception_fp_ieee_underflow 0
		.amdhsa_exception_fp_ieee_inexact 0
		.amdhsa_exception_int_div_zero 0
	.end_amdhsa_kernel
	.section	.text._ZN4vllm21deepseek_v4_fused_ops47fusedDeepseekV4QNormRopeKVRopeQuantInsertKernelIN3c108BFloat16ELi128EEEvPKT_PS4_S6_PhPKlSA_PKffiiiii,"axG",@progbits,_ZN4vllm21deepseek_v4_fused_ops47fusedDeepseekV4QNormRopeKVRopeQuantInsertKernelIN3c108BFloat16ELi128EEEvPKT_PS4_S6_PhPKlSA_PKffiiiii,comdat
.Lfunc_end9:
	.size	_ZN4vllm21deepseek_v4_fused_ops47fusedDeepseekV4QNormRopeKVRopeQuantInsertKernelIN3c108BFloat16ELi128EEEvPKT_PS4_S6_PhPKlSA_PKffiiiii, .Lfunc_end9-_ZN4vllm21deepseek_v4_fused_ops47fusedDeepseekV4QNormRopeKVRopeQuantInsertKernelIN3c108BFloat16ELi128EEEvPKT_PS4_S6_PhPKlSA_PKffiiiii
                                        ; -- End function
	.section	.AMDGPU.csdata,"",@progbits
; Kernel info:
; codeLenInByte = 5680
; NumSgprs: 30
; NumVgprs: 46
; NumAgprs: 0
; TotalNumVgprs: 46
; ScratchSize: 0
; MemoryBound: 1
; FloatMode: 240
; IeeeMode: 1
; LDSByteSize: 0 bytes/workgroup (compile time only)
; SGPRBlocks: 3
; VGPRBlocks: 5
; NumSGPRsForWavesPerEU: 30
; NumVGPRsForWavesPerEU: 46
; AccumOffset: 48
; Occupancy: 8
; WaveLimiterHint : 1
; COMPUTE_PGM_RSRC2:SCRATCH_EN: 0
; COMPUTE_PGM_RSRC2:USER_SGPR: 2
; COMPUTE_PGM_RSRC2:TRAP_HANDLER: 0
; COMPUTE_PGM_RSRC2:TGID_X_EN: 1
; COMPUTE_PGM_RSRC2:TGID_Y_EN: 0
; COMPUTE_PGM_RSRC2:TGID_Z_EN: 0
; COMPUTE_PGM_RSRC2:TIDIG_COMP_CNT: 0
; COMPUTE_PGM_RSRC3_GFX90A:ACCUM_OFFSET: 11
; COMPUTE_PGM_RSRC3_GFX90A:TG_SPLIT: 0
	.section	.text._ZN4vllm21deepseek_v4_fused_ops30fusedDeepseekV4FullCacheKernelIN3c104HalfELb0ELb0EEEvPT_PhllPKS4_S6_PKlSA_PKfSC_SC_fiiiill,"axG",@progbits,_ZN4vllm21deepseek_v4_fused_ops30fusedDeepseekV4FullCacheKernelIN3c104HalfELb0ELb0EEEvPT_PhllPKS4_S6_PKlSA_PKfSC_SC_fiiiill,comdat
	.protected	_ZN4vllm21deepseek_v4_fused_ops30fusedDeepseekV4FullCacheKernelIN3c104HalfELb0ELb0EEEvPT_PhllPKS4_S6_PKlSA_PKfSC_SC_fiiiill ; -- Begin function _ZN4vllm21deepseek_v4_fused_ops30fusedDeepseekV4FullCacheKernelIN3c104HalfELb0ELb0EEEvPT_PhllPKS4_S6_PKlSA_PKfSC_SC_fiiiill
	.globl	_ZN4vllm21deepseek_v4_fused_ops30fusedDeepseekV4FullCacheKernelIN3c104HalfELb0ELb0EEEvPT_PhllPKS4_S6_PKlSA_PKfSC_SC_fiiiill
	.p2align	8
	.type	_ZN4vllm21deepseek_v4_fused_ops30fusedDeepseekV4FullCacheKernelIN3c104HalfELb0ELb0EEEvPT_PhllPKS4_S6_PKlSA_PKfSC_SC_fiiiill,@function
_ZN4vllm21deepseek_v4_fused_ops30fusedDeepseekV4FullCacheKernelIN3c104HalfELb0ELb0EEEvPT_PhllPKS4_S6_PKlSA_PKfSC_SC_fiiiill: ; @_ZN4vllm21deepseek_v4_fused_ops30fusedDeepseekV4FullCacheKernelIN3c104HalfELb0ELb0EEEvPT_PhllPKS4_S6_PKlSA_PKfSC_SC_fiiiill
; %bb.0:
	s_load_dwordx4 s[8:11], s[0:1], 0x58
	s_load_dword s4, s[0:1], 0x8c
	v_lshrrev_b32_e32 v2, 5, v0
	s_waitcnt lgkmcnt(0)
	s_add_i32 s3, s11, 1
	s_abs_i32 s5, s3
	v_cvt_f32_u32_e32 v1, s5
	s_bfe_u32 s4, s4, 0xb0005
	s_mul_i32 s2, s2, s4
	v_rcp_iflag_f32_e32 v3, v1
	v_add_u32_e32 v1, s2, v2
	s_sub_i32 s2, 0, s5
	v_sub_u32_e32 v4, 0, v1
	v_mul_f32_e32 v3, 0x4f7ffffe, v3
	v_cvt_u32_f32_e32 v3, v3
	v_max_i32_e32 v4, v1, v4
	v_xor_b32_e32 v2, s3, v1
	v_ashrrev_i32_e32 v2, 31, v2
	v_mul_lo_u32 v5, s2, v3
	v_mul_hi_u32 v5, v3, v5
	v_add_u32_e32 v3, v3, v5
	v_mul_hi_u32 v3, v4, v3
	v_mul_lo_u32 v5, v3, s5
	v_sub_u32_e32 v4, v4, v5
	v_add_u32_e32 v6, 1, v3
	v_cmp_le_u32_e32 vcc, s5, v4
	v_subrev_u32_e32 v5, s5, v4
	s_nop 0
	v_cndmask_b32_e32 v3, v3, v6, vcc
	v_cndmask_b32_e32 v4, v4, v5, vcc
	v_add_u32_e32 v5, 1, v3
	v_cmp_le_u32_e32 vcc, s5, v4
	s_nop 1
	v_cndmask_b32_e32 v3, v3, v5, vcc
	v_xor_b32_e32 v3, v3, v2
	v_sub_u32_e32 v34, v3, v2
	v_cmp_gt_i32_e32 vcc, s9, v34
	s_and_saveexec_b64 s[4:5], vcc
	s_cbranch_execz .LBB10_12
; %bb.1:
	s_load_dword s20, s[0:1], 0x68
	v_mul_lo_u32 v2, v34, s3
	v_sub_u32_e32 v36, v1, v2
	v_cmp_ne_u32_e64 s[2:3], s11, v36
	v_cmp_gt_i32_e64 s[4:5], s10, v34
	v_cmp_eq_u32_e32 vcc, s11, v36
	s_or_b64 s[4:5], s[4:5], s[2:3]
	s_and_b64 exec, exec, s[4:5]
	s_cbranch_execz .LBB10_12
; %bb.2:
	s_load_dwordx2 s[6:7], s[0:1], 0x20
	s_load_dwordx2 s[4:5], s[0:1], 0x0
	v_ashrrev_i32_e32 v35, 31, v34
	v_ashrrev_i32_e32 v37, 31, v36
	v_mov_b64_e32 v[4:5], v[34:35]
	s_waitcnt lgkmcnt(0)
	v_mov_b64_e32 v[2:3], s[6:7]
	s_and_saveexec_b64 s[6:7], s[2:3]
; %bb.3:
	v_mad_i64_i32 v[4:5], s[12:13], v34, s11, v[36:37]
	v_mov_b64_e32 v[2:3], s[4:5]
; %bb.4:
	s_or_b64 exec, exec, s[6:7]
	v_lshlrev_b32_e32 v0, 4, v0
	v_and_b32_e32 v16, 0x1f0, v0
	v_lshlrev_b64 v[0:1], 10, v[4:5]
	v_lshl_add_u64 v[0:1], v[2:3], 0, v[0:1]
	v_mov_b32_e32 v33, 0
	v_lshlrev_b32_e32 v32, 1, v16
	v_lshl_add_u64 v[0:1], v[0:1], 0, v[32:33]
	global_load_dwordx4 v[4:7], v[0:1], off
	global_load_dwordx4 v[12:15], v[0:1], off offset:16
	s_waitcnt vmcnt(1)
	v_cvt_f32_f16_e32 v0, v4
	v_cvt_f32_f16_sdwa v1, v4 dst_sel:DWORD dst_unused:UNUSED_PAD src0_sel:WORD_1
	v_cvt_f32_f16_e32 v2, v5
	v_cvt_f32_f16_sdwa v3, v5 dst_sel:DWORD dst_unused:UNUSED_PAD src0_sel:WORD_1
	;; [unrolled: 2-line block ×4, first 2 shown]
	s_waitcnt vmcnt(0)
	v_cvt_f32_f16_e32 v8, v12
	v_cvt_f32_f16_sdwa v9, v12 dst_sel:DWORD dst_unused:UNUSED_PAD src0_sel:WORD_1
	v_cvt_f32_f16_e32 v10, v13
	v_cvt_f32_f16_sdwa v11, v13 dst_sel:DWORD dst_unused:UNUSED_PAD src0_sel:WORD_1
	;; [unrolled: 2-line block ×4, first 2 shown]
	s_and_saveexec_b64 s[6:7], s[2:3]
	s_cbranch_execz .LBB10_6
; %bb.5:
	v_pk_mul_f32 v[18:19], v[0:1], v[0:1]
	v_pk_mul_f32 v[20:21], v[2:3], v[2:3]
	v_add_f32_e32 v17, v18, v19
	v_add_f32_e32 v17, v17, v20
	v_pk_mul_f32 v[22:23], v[4:5], v[4:5]
	v_add_f32_e32 v17, v17, v21
	v_add_f32_e32 v17, v17, v22
	;; [unrolled: 3-line block ×4, first 2 shown]
	v_pk_mul_f32 v[28:29], v[10:11], v[10:11]
	v_add_f32_e32 v17, v17, v27
	v_mbcnt_lo_u32_b32 v18, -1, 0
	v_add_f32_e32 v17, v17, v28
	v_mbcnt_hi_u32_b32 v18, -1, v18
	v_pk_mul_f32 v[30:31], v[12:13], v[12:13]
	v_add_f32_e32 v17, v17, v29
	v_and_b32_e32 v19, 0x60, v18
	v_add_f32_e32 v17, v17, v30
	v_add_u32_e32 v19, 32, v19
	v_xor_b32_e32 v20, 16, v18
	v_pk_mul_f32 v[38:39], v[14:15], v[14:15]
	v_add_f32_e32 v17, v17, v31
	v_cmp_lt_i32_e64 s[2:3], v20, v19
	v_add_f32_e32 v17, v17, v38
	v_add_f32_e32 v17, v17, v39
	v_cndmask_b32_e64 v20, v18, v20, s[2:3]
	v_lshlrev_b32_e32 v20, 2, v20
	ds_bpermute_b32 v20, v20, v17
	s_waitcnt lgkmcnt(0)
	v_add_f32_e32 v17, v17, v20
	v_xor_b32_e32 v20, 8, v18
	v_cmp_lt_i32_e64 s[2:3], v20, v19
	s_nop 1
	v_cndmask_b32_e64 v20, v18, v20, s[2:3]
	v_lshlrev_b32_e32 v20, 2, v20
	ds_bpermute_b32 v20, v20, v17
	s_waitcnt lgkmcnt(0)
	v_add_f32_e32 v17, v17, v20
	v_xor_b32_e32 v20, 4, v18
	v_cmp_lt_i32_e64 s[2:3], v20, v19
	s_nop 1
	;; [unrolled: 8-line block ×4, first 2 shown]
	v_cndmask_b32_e64 v18, v18, v20, s[2:3]
	v_lshlrev_b32_e32 v18, 2, v18
	ds_bpermute_b32 v18, v18, v17
	s_mov_b32 s2, 0x800000
	s_waitcnt lgkmcnt(0)
	v_add_f32_e32 v17, v17, v18
	v_mov_b32_e32 v18, s8
	v_fmamk_f32 v17, v17, 0x3b000000, v18
	v_mul_f32_e32 v18, 0x4b800000, v17
	v_cmp_gt_f32_e64 s[2:3], s2, v17
	s_nop 1
	v_cndmask_b32_e64 v17, v17, v18, s[2:3]
	v_rsq_f32_e32 v17, v17
	s_nop 0
	v_mul_f32_e32 v18, 0x45800000, v17
	v_cndmask_b32_e64 v18, v17, v18, s[2:3]
	v_pk_mul_f32 v[14:15], v[18:19], v[14:15] op_sel_hi:[0,1]
	v_pk_mul_f32 v[12:13], v[18:19], v[12:13] op_sel_hi:[0,1]
	;; [unrolled: 1-line block ×8, first 2 shown]
.LBB10_6:
	s_or_b64 exec, exec, s[6:7]
	s_movk_i32 s2, 0x1bf
	v_cmp_lt_u32_e64 s[2:3], s2, v16
	s_and_saveexec_b64 s[6:7], s[2:3]
	s_cbranch_execz .LBB10_8
; %bb.7:
	s_load_dwordx4 s[12:15], s[0:1], 0x38
	v_add_u32_e32 v16, 0xfffffe40, v16
	v_mov_b32_e32 v17, 0
	v_lshrrev_b32_e32 v16, 1, v16
	s_waitcnt lgkmcnt(0)
	v_lshl_add_u64 v[18:19], v[34:35], 3, s[12:13]
	global_load_dwordx2 v[18:19], v[18:19], off
	s_waitcnt vmcnt(0)
	v_lshlrev_b64 v[18:19], 8, v[18:19]
	v_lshl_add_u64 v[18:19], s[14:15], 0, v[18:19]
	v_lshl_add_u64 v[16:17], v[16:17], 2, v[18:19]
	global_load_dwordx4 v[38:41], v[16:17], off offset:128
	global_load_dwordx4 v[42:45], v[16:17], off
	global_load_dwordx4 v[46:49], v[16:17], off offset:144
	global_load_dwordx4 v[50:53], v[16:17], off offset:16
	s_waitcnt vmcnt(3)
	v_mul_f32_e32 v16, v38, v1
	s_waitcnt vmcnt(2)
	v_mul_f32_e32 v17, v42, v1
	v_mul_f32_e32 v1, v39, v3
	;; [unrolled: 1-line block ×7, first 2 shown]
	s_waitcnt vmcnt(1)
	v_mul_f32_e32 v7, v46, v9
	s_waitcnt vmcnt(0)
	v_mul_f32_e32 v25, v50, v9
	v_mul_f32_e32 v9, v47, v11
	;; [unrolled: 1-line block ×7, first 2 shown]
	v_fma_f32 v16, v42, v0, -v16
	v_fmac_f32_e32 v17, v38, v0
	v_fma_f32 v18, v43, v2, -v1
	v_fmac_f32_e32 v19, v39, v2
	v_fma_f32 v20, v44, v4, -v3
	v_fmac_f32_e32 v21, v40, v4
	v_fma_f32 v22, v45, v6, -v5
	v_fmac_f32_e32 v23, v41, v6
	v_fma_f32 v24, v50, v8, -v7
	v_fmac_f32_e32 v25, v46, v8
	v_fma_f32 v26, v51, v10, -v9
	v_fmac_f32_e32 v27, v47, v10
	v_fma_f32 v28, v52, v12, -v11
	v_fmac_f32_e32 v29, v48, v12
	v_fma_f32 v30, v53, v14, -v13
	v_fmac_f32_e32 v31, v49, v14
	v_mov_b64_e32 v[0:1], v[16:17]
	v_mov_b64_e32 v[2:3], v[18:19]
	;; [unrolled: 1-line block ×8, first 2 shown]
.LBB10_8:
	s_or_b64 exec, exec, s[6:7]
	s_mov_b64 s[2:3], 0
                                        ; implicit-def: $vgpr23
                                        ; implicit-def: $vgpr19
                                        ; implicit-def: $vgpr24_vgpr25
	s_and_saveexec_b64 s[6:7], vcc
	s_xor_b64 s[6:7], exec, s[6:7]
	s_cbranch_execnz .LBB10_13
; %bb.9:
	s_andn2_saveexec_b64 s[0:1], s[6:7]
	s_cbranch_execnz .LBB10_20
.LBB10_10:
	s_or_b64 exec, exec, s[0:1]
	s_and_b64 exec, exec, s[2:3]
	s_cbranch_execz .LBB10_12
.LBB10_11:
	v_mov_b32_e32 v33, 0
	v_lshl_add_u64 v[0:1], v[24:25], 0, v[32:33]
	global_store_dwordx4 v[0:1], v[16:19], off
	global_store_dwordx4 v[0:1], v[20:23], off offset:16
.LBB10_12:
	s_endpgm
.LBB10_13:
	s_load_dwordx2 s[2:3], s[0:1], 0x30
                                        ; implicit-def: $vgpr23
                                        ; implicit-def: $vgpr19
                                        ; implicit-def: $vgpr24_vgpr25
	s_waitcnt lgkmcnt(0)
	v_lshl_add_u64 v[16:17], v[34:35], 3, s[2:3]
	global_load_dwordx2 v[16:17], v[16:17], off
	s_mov_b64 s[2:3], 0
	s_waitcnt vmcnt(0)
	v_cmp_lt_i64_e32 vcc, -1, v[16:17]
	s_and_saveexec_b64 s[8:9], vcc
	s_cbranch_execz .LBB10_19
; %bb.14:
	s_load_dwordx2 s[12:13], s[0:1], 0x28
	s_ashr_i32 s10, s20, 31
	v_or_b32_e32 v19, s10, v17
	v_mov_b32_e32 v18, 0
	v_cmp_ne_u64_e32 vcc, 0, v[18:19]
                                        ; implicit-def: $vgpr20_vgpr21
	s_and_saveexec_b64 s[2:3], vcc
	s_xor_b64 s[14:15], exec, s[2:3]
	s_cbranch_execz .LBB10_16
; %bb.15:
	s_add_u32 s2, s20, s10
	s_mov_b32 s16, s10
	s_mov_b32 s17, s10
	s_addc_u32 s3, s10, s10
	s_xor_b64 s[18:19], s[2:3], s[16:17]
	v_cvt_f32_u32_e32 v19, s18
	v_cvt_f32_u32_e32 v20, s19
	s_sub_u32 s2, 0, s18
	s_subb_u32 s3, 0, s19
	v_mov_b32_e32 v23, v18
	v_fmamk_f32 v19, v20, 0x4f800000, v19
	v_rcp_f32_e32 v19, v19
	s_nop 0
	v_mul_f32_e32 v19, 0x5f7ffffc, v19
	v_mul_f32_e32 v20, 0x2f800000, v19
	v_trunc_f32_e32 v20, v20
	v_fmamk_f32 v19, v20, 0xcf800000, v19
	v_cvt_u32_f32_e32 v24, v20
	v_cvt_u32_f32_e32 v19, v19
	v_mul_lo_u32 v20, s2, v24
	v_mul_hi_u32 v22, s2, v19
	v_mul_lo_u32 v21, s3, v19
	v_add_u32_e32 v20, v22, v20
	v_mul_lo_u32 v25, s2, v19
	v_add_u32_e32 v26, v20, v21
	v_mul_hi_u32 v21, v19, v26
	v_mul_lo_u32 v20, v19, v26
	v_mul_hi_u32 v22, v19, v25
	v_lshl_add_u64 v[20:21], v[22:23], 0, v[20:21]
	v_mul_hi_u32 v23, v24, v25
	v_mul_lo_u32 v25, v24, v25
	v_add_co_u32_e32 v20, vcc, v20, v25
	v_mul_hi_u32 v22, v24, v26
	s_nop 0
	v_addc_co_u32_e32 v20, vcc, v21, v23, vcc
	v_mov_b32_e32 v21, v18
	s_nop 0
	v_addc_co_u32_e32 v23, vcc, 0, v22, vcc
	v_mul_lo_u32 v22, v24, v26
	v_lshl_add_u64 v[20:21], v[20:21], 0, v[22:23]
	v_add_co_u32_e32 v19, vcc, v19, v20
	v_mul_lo_u32 v22, s2, v19
	s_nop 0
	v_addc_co_u32_e32 v24, vcc, v24, v21, vcc
	v_mul_lo_u32 v20, s2, v24
	v_mul_hi_u32 v21, s2, v19
	v_add_u32_e32 v20, v21, v20
	v_mul_lo_u32 v21, s3, v19
	v_add_u32_e32 v25, v20, v21
	v_mul_hi_u32 v27, v24, v22
	v_mul_lo_u32 v28, v24, v22
	v_mul_hi_u32 v21, v19, v25
	v_mul_lo_u32 v20, v19, v25
	v_mul_hi_u32 v22, v19, v22
	v_mov_b32_e32 v23, v18
	v_lshl_add_u64 v[20:21], v[22:23], 0, v[20:21]
	v_add_co_u32_e32 v20, vcc, v20, v28
	v_mul_hi_u32 v26, v24, v25
	s_nop 0
	v_addc_co_u32_e32 v20, vcc, v21, v27, vcc
	v_mul_lo_u32 v22, v24, v25
	s_nop 0
	v_addc_co_u32_e32 v23, vcc, 0, v26, vcc
	v_mov_b32_e32 v21, v18
	v_lshl_add_u64 v[20:21], v[20:21], 0, v[22:23]
	v_add_co_u32_e32 v19, vcc, v19, v20
	v_ashrrev_i32_e32 v20, 31, v17
	s_nop 0
	v_addc_co_u32_e32 v26, vcc, v24, v21, vcc
	v_mov_b32_e32 v21, v20
	v_lshl_add_u64 v[22:23], v[16:17], 0, v[20:21]
	v_xor_b32_e32 v28, v22, v20
	v_xor_b32_e32 v21, v23, v20
	v_mad_u64_u32 v[22:23], s[2:3], v28, v26, 0
	v_mul_hi_u32 v24, v28, v19
	v_mov_b32_e32 v25, v18
	v_lshl_add_u64 v[22:23], v[24:25], 0, v[22:23]
	v_mad_u64_u32 v[24:25], s[2:3], v21, v26, 0
	v_mad_u64_u32 v[26:27], s[2:3], v21, v19, 0
	v_add_co_u32_e32 v19, vcc, v22, v26
	s_nop 1
	v_addc_co_u32_e32 v22, vcc, v23, v27, vcc
	v_mov_b32_e32 v23, v18
	s_nop 0
	v_addc_co_u32_e32 v25, vcc, 0, v25, vcc
	v_lshl_add_u64 v[18:19], v[22:23], 0, v[24:25]
	v_mul_lo_u32 v24, s19, v18
	v_mul_lo_u32 v25, s18, v19
	v_mad_u64_u32 v[22:23], s[2:3], s18, v18, 0
	v_add3_u32 v26, v23, v25, v24
	v_sub_u32_e32 v23, v21, v26
	v_mov_b32_e32 v24, s19
	v_sub_co_u32_e32 v27, vcc, v28, v22
	s_nop 1
	v_subb_co_u32_e64 v22, s[2:3], v23, v24, vcc
	v_subrev_co_u32_e64 v23, s[2:3], s18, v27
	v_subb_co_u32_e32 v21, vcc, v21, v26, vcc
	s_nop 0
	v_subbrev_co_u32_e64 v22, s[2:3], 0, v22, s[2:3]
	v_cmp_le_u32_e64 s[2:3], s19, v22
	v_cmp_le_u32_e32 vcc, s19, v21
	s_nop 0
	v_cndmask_b32_e64 v24, 0, -1, s[2:3]
	v_cmp_le_u32_e64 s[2:3], s18, v23
	s_nop 1
	v_cndmask_b32_e64 v23, 0, -1, s[2:3]
	v_cmp_eq_u32_e64 s[2:3], s19, v22
	s_nop 1
	v_cndmask_b32_e64 v28, v24, v23, s[2:3]
	v_lshl_add_u64 v[22:23], v[18:19], 0, 2
	v_lshl_add_u64 v[24:25], v[18:19], 0, 1
	v_cmp_ne_u32_e64 s[2:3], 0, v28
	s_nop 1
	v_cndmask_b32_e64 v23, v25, v23, s[2:3]
	v_cndmask_b32_e64 v25, 0, -1, vcc
	v_cmp_le_u32_e32 vcc, s18, v27
	s_nop 1
	v_cndmask_b32_e64 v26, 0, -1, vcc
	v_cmp_eq_u32_e32 vcc, s19, v21
	s_nop 1
	v_cndmask_b32_e32 v21, v25, v26, vcc
	v_cmp_ne_u32_e32 vcc, 0, v21
	v_cndmask_b32_e64 v21, v24, v22, s[2:3]
	s_nop 0
	v_cndmask_b32_e32 v18, v18, v21, vcc
	v_xor_b32_e32 v21, s17, v20
	v_xor_b32_e32 v20, s16, v20
	v_cndmask_b32_e32 v19, v19, v23, vcc
	v_xor_b32_e32 v18, v18, v20
	v_xor_b32_e32 v19, v19, v21
	v_sub_co_u32_e32 v20, vcc, v18, v20
	s_nop 1
	v_subb_co_u32_e32 v21, vcc, v19, v21, vcc
.LBB10_16:
	s_andn2_saveexec_b64 s[2:3], s[14:15]
	s_cbranch_execz .LBB10_18
; %bb.17:
	v_cvt_f32_u32_e32 v18, s20
	s_sub_i32 s14, 0, s20
	v_rcp_iflag_f32_e32 v18, v18
	s_nop 0
	v_mul_f32_e32 v18, 0x4f7ffffe, v18
	v_cvt_u32_f32_e32 v18, v18
	v_mul_lo_u32 v19, s14, v18
	v_mul_hi_u32 v19, v18, v19
	v_add_u32_e32 v18, v18, v19
	v_mul_hi_u32 v18, v16, v18
	v_mul_lo_u32 v19, v18, s20
	v_sub_u32_e32 v19, v16, v19
	v_add_u32_e32 v20, 1, v18
	v_subrev_u32_e32 v21, s20, v19
	v_cmp_le_u32_e32 vcc, s20, v19
	s_nop 1
	v_cndmask_b32_e32 v19, v19, v21, vcc
	v_cndmask_b32_e32 v18, v18, v20, vcc
	v_add_u32_e32 v20, 1, v18
	v_cmp_le_u32_e32 vcc, s20, v19
	v_mov_b32_e32 v21, 0
	s_nop 0
	v_cndmask_b32_e32 v20, v18, v20, vcc
.LBB10_18:
	s_or_b64 exec, exec, s[2:3]
	s_load_dwordx4 s[16:19], s[0:1], 0x70
	v_cvt_f16_f32_e32 v0, v0
	v_cvt_f16_f32_e32 v1, v1
	v_cvt_f16_f32_e32 v2, v2
	v_cvt_f16_f32_e32 v3, v3
	v_cvt_f16_f32_e32 v4, v4
	v_cvt_f16_f32_e32 v5, v5
	v_cvt_f16_f32_e32 v6, v6
	v_cvt_f16_f32_e32 v7, v7
	v_mul_lo_u32 v22, v21, s20
	v_mul_lo_u32 v23, v20, s10
	v_mad_u64_u32 v[18:19], s[0:1], v20, s20, 0
	v_add3_u32 v19, v19, v23, v22
	v_sub_co_u32_e32 v26, vcc, v16, v18
	v_pack_b32_f16 v16, v0, v1
	s_waitcnt lgkmcnt(0)
	v_mov_b64_e32 v[0:1], s[12:13]
	v_subb_co_u32_e32 v27, vcc, v17, v19, vcc
	v_pack_b32_f16 v17, v2, v3
	v_mad_u64_u32 v[0:1], s[0:1], v20, s16, v[0:1]
	v_mul_lo_u32 v2, v20, s17
	v_mul_lo_u32 v3, v21, s16
	v_pack_b32_f16 v18, v4, v5
	v_pack_b32_f16 v19, v6, v7
	v_add3_u32 v1, v3, v1, v2
	v_cvt_f16_f32_e32 v2, v8
	v_cvt_f16_f32_e32 v3, v9
	;; [unrolled: 1-line block ×8, first 2 shown]
	v_mad_u64_u32 v[24:25], s[0:1], v26, s18, v[0:1]
	v_mul_lo_u32 v0, v26, s19
	v_mul_lo_u32 v1, v27, s18
	s_mov_b64 s[2:3], exec
	v_pack_b32_f16 v20, v2, v3
	v_pack_b32_f16 v21, v4, v5
	;; [unrolled: 1-line block ×4, first 2 shown]
	v_add3_u32 v25, v1, v25, v0
.LBB10_19:
	s_or_b64 exec, exec, s[8:9]
	s_and_b64 s[2:3], s[2:3], exec
                                        ; implicit-def: $vgpr0_vgpr1_vgpr2_vgpr3_vgpr4_vgpr5_vgpr6_vgpr7_vgpr8_vgpr9_vgpr10_vgpr11_vgpr12_vgpr13_vgpr14_vgpr15
                                        ; implicit-def: $vgpr36
                                        ; implicit-def: $vgpr34_vgpr35
	s_andn2_saveexec_b64 s[0:1], s[6:7]
	s_cbranch_execz .LBB10_10
.LBB10_20:
	v_cvt_f16_f32_e32 v0, v0
	v_cvt_f16_f32_e32 v1, v1
	v_cvt_f16_f32_e32 v2, v2
	v_cvt_f16_f32_e32 v3, v3
	v_cvt_f16_f32_e32 v4, v4
	v_cvt_f16_f32_e32 v5, v5
	v_cvt_f16_f32_e32 v6, v6
	v_cvt_f16_f32_e32 v7, v7
	v_pack_b32_f16 v16, v0, v1
	v_cvt_f16_f32_e32 v0, v8
	v_cvt_f16_f32_e32 v1, v9
	v_pack_b32_f16 v17, v2, v3
	v_pack_b32_f16 v18, v4, v5
	;; [unrolled: 1-line block ×3, first 2 shown]
	v_cvt_f16_f32_e32 v2, v10
	v_cvt_f16_f32_e32 v3, v11
	;; [unrolled: 1-line block ×6, first 2 shown]
	v_pack_b32_f16 v20, v0, v1
	v_mad_i64_i32 v[0:1], s[6:7], v34, s11, v[36:37]
	v_lshlrev_b64 v[0:1], 10, v[0:1]
	v_pack_b32_f16 v21, v2, v3
	v_pack_b32_f16 v22, v4, v5
	;; [unrolled: 1-line block ×3, first 2 shown]
	v_lshl_add_u64 v[24:25], s[4:5], 0, v[0:1]
	s_or_b64 s[2:3], s[2:3], exec
	s_or_b64 exec, exec, s[0:1]
	s_and_b64 exec, exec, s[2:3]
	s_cbranch_execnz .LBB10_11
	s_branch .LBB10_12
	.section	.rodata,"a",@progbits
	.p2align	6, 0x0
	.amdhsa_kernel _ZN4vllm21deepseek_v4_fused_ops30fusedDeepseekV4FullCacheKernelIN3c104HalfELb0ELb0EEEvPT_PhllPKS4_S6_PKlSA_PKfSC_SC_fiiiill
		.amdhsa_group_segment_fixed_size 0
		.amdhsa_private_segment_fixed_size 0
		.amdhsa_kernarg_size 384
		.amdhsa_user_sgpr_count 2
		.amdhsa_user_sgpr_dispatch_ptr 0
		.amdhsa_user_sgpr_queue_ptr 0
		.amdhsa_user_sgpr_kernarg_segment_ptr 1
		.amdhsa_user_sgpr_dispatch_id 0
		.amdhsa_user_sgpr_kernarg_preload_length 0
		.amdhsa_user_sgpr_kernarg_preload_offset 0
		.amdhsa_user_sgpr_private_segment_size 0
		.amdhsa_uses_dynamic_stack 0
		.amdhsa_enable_private_segment 0
		.amdhsa_system_sgpr_workgroup_id_x 1
		.amdhsa_system_sgpr_workgroup_id_y 0
		.amdhsa_system_sgpr_workgroup_id_z 0
		.amdhsa_system_sgpr_workgroup_info 0
		.amdhsa_system_vgpr_workitem_id 0
		.amdhsa_next_free_vgpr 54
		.amdhsa_next_free_sgpr 21
		.amdhsa_accum_offset 56
		.amdhsa_reserve_vcc 1
		.amdhsa_float_round_mode_32 0
		.amdhsa_float_round_mode_16_64 0
		.amdhsa_float_denorm_mode_32 3
		.amdhsa_float_denorm_mode_16_64 3
		.amdhsa_dx10_clamp 1
		.amdhsa_ieee_mode 1
		.amdhsa_fp16_overflow 0
		.amdhsa_tg_split 0
		.amdhsa_exception_fp_ieee_invalid_op 0
		.amdhsa_exception_fp_denorm_src 0
		.amdhsa_exception_fp_ieee_div_zero 0
		.amdhsa_exception_fp_ieee_overflow 0
		.amdhsa_exception_fp_ieee_underflow 0
		.amdhsa_exception_fp_ieee_inexact 0
		.amdhsa_exception_int_div_zero 0
	.end_amdhsa_kernel
	.section	.text._ZN4vllm21deepseek_v4_fused_ops30fusedDeepseekV4FullCacheKernelIN3c104HalfELb0ELb0EEEvPT_PhllPKS4_S6_PKlSA_PKfSC_SC_fiiiill,"axG",@progbits,_ZN4vllm21deepseek_v4_fused_ops30fusedDeepseekV4FullCacheKernelIN3c104HalfELb0ELb0EEEvPT_PhllPKS4_S6_PKlSA_PKfSC_SC_fiiiill,comdat
.Lfunc_end10:
	.size	_ZN4vllm21deepseek_v4_fused_ops30fusedDeepseekV4FullCacheKernelIN3c104HalfELb0ELb0EEEvPT_PhllPKS4_S6_PKlSA_PKfSC_SC_fiiiill, .Lfunc_end10-_ZN4vllm21deepseek_v4_fused_ops30fusedDeepseekV4FullCacheKernelIN3c104HalfELb0ELb0EEEvPT_PhllPKS4_S6_PKlSA_PKfSC_SC_fiiiill
                                        ; -- End function
	.section	.AMDGPU.csdata,"",@progbits
; Kernel info:
; codeLenInByte = 2788
; NumSgprs: 27
; NumVgprs: 54
; NumAgprs: 0
; TotalNumVgprs: 54
; ScratchSize: 0
; MemoryBound: 0
; FloatMode: 240
; IeeeMode: 1
; LDSByteSize: 0 bytes/workgroup (compile time only)
; SGPRBlocks: 3
; VGPRBlocks: 6
; NumSGPRsForWavesPerEU: 27
; NumVGPRsForWavesPerEU: 54
; AccumOffset: 56
; Occupancy: 8
; WaveLimiterHint : 1
; COMPUTE_PGM_RSRC2:SCRATCH_EN: 0
; COMPUTE_PGM_RSRC2:USER_SGPR: 2
; COMPUTE_PGM_RSRC2:TRAP_HANDLER: 0
; COMPUTE_PGM_RSRC2:TGID_X_EN: 1
; COMPUTE_PGM_RSRC2:TGID_Y_EN: 0
; COMPUTE_PGM_RSRC2:TGID_Z_EN: 0
; COMPUTE_PGM_RSRC2:TIDIG_COMP_CNT: 0
; COMPUTE_PGM_RSRC3_GFX90A:ACCUM_OFFSET: 13
; COMPUTE_PGM_RSRC3_GFX90A:TG_SPLIT: 0
	.section	.text._ZN4vllm21deepseek_v4_fused_ops30fusedDeepseekV4FullCacheKernelIN3c108BFloat16ELb0ELb0EEEvPT_PhllPKS4_S6_PKlSA_PKfSC_SC_fiiiill,"axG",@progbits,_ZN4vllm21deepseek_v4_fused_ops30fusedDeepseekV4FullCacheKernelIN3c108BFloat16ELb0ELb0EEEvPT_PhllPKS4_S6_PKlSA_PKfSC_SC_fiiiill,comdat
	.protected	_ZN4vllm21deepseek_v4_fused_ops30fusedDeepseekV4FullCacheKernelIN3c108BFloat16ELb0ELb0EEEvPT_PhllPKS4_S6_PKlSA_PKfSC_SC_fiiiill ; -- Begin function _ZN4vllm21deepseek_v4_fused_ops30fusedDeepseekV4FullCacheKernelIN3c108BFloat16ELb0ELb0EEEvPT_PhllPKS4_S6_PKlSA_PKfSC_SC_fiiiill
	.globl	_ZN4vllm21deepseek_v4_fused_ops30fusedDeepseekV4FullCacheKernelIN3c108BFloat16ELb0ELb0EEEvPT_PhllPKS4_S6_PKlSA_PKfSC_SC_fiiiill
	.p2align	8
	.type	_ZN4vllm21deepseek_v4_fused_ops30fusedDeepseekV4FullCacheKernelIN3c108BFloat16ELb0ELb0EEEvPT_PhllPKS4_S6_PKlSA_PKfSC_SC_fiiiill,@function
_ZN4vllm21deepseek_v4_fused_ops30fusedDeepseekV4FullCacheKernelIN3c108BFloat16ELb0ELb0EEEvPT_PhllPKS4_S6_PKlSA_PKfSC_SC_fiiiill: ; @_ZN4vllm21deepseek_v4_fused_ops30fusedDeepseekV4FullCacheKernelIN3c108BFloat16ELb0ELb0EEEvPT_PhllPKS4_S6_PKlSA_PKfSC_SC_fiiiill
; %bb.0:
	s_load_dwordx4 s[8:11], s[0:1], 0x58
	s_load_dword s4, s[0:1], 0x8c
	v_lshrrev_b32_e32 v2, 5, v0
	s_waitcnt lgkmcnt(0)
	s_add_i32 s3, s11, 1
	s_abs_i32 s5, s3
	v_cvt_f32_u32_e32 v1, s5
	s_bfe_u32 s4, s4, 0xb0005
	s_mul_i32 s2, s2, s4
	v_rcp_iflag_f32_e32 v3, v1
	v_add_u32_e32 v1, s2, v2
	s_sub_i32 s2, 0, s5
	v_sub_u32_e32 v4, 0, v1
	v_mul_f32_e32 v3, 0x4f7ffffe, v3
	v_cvt_u32_f32_e32 v3, v3
	v_max_i32_e32 v4, v1, v4
	v_xor_b32_e32 v2, s3, v1
	v_ashrrev_i32_e32 v2, 31, v2
	v_mul_lo_u32 v5, s2, v3
	v_mul_hi_u32 v5, v3, v5
	v_add_u32_e32 v3, v3, v5
	v_mul_hi_u32 v3, v4, v3
	v_mul_lo_u32 v5, v3, s5
	v_sub_u32_e32 v4, v4, v5
	v_add_u32_e32 v6, 1, v3
	v_cmp_le_u32_e32 vcc, s5, v4
	v_subrev_u32_e32 v5, s5, v4
	s_nop 0
	v_cndmask_b32_e32 v3, v3, v6, vcc
	v_cndmask_b32_e32 v4, v4, v5, vcc
	v_add_u32_e32 v5, 1, v3
	v_cmp_le_u32_e32 vcc, s5, v4
	s_nop 1
	v_cndmask_b32_e32 v3, v3, v5, vcc
	v_xor_b32_e32 v3, v3, v2
	v_sub_u32_e32 v34, v3, v2
	v_cmp_gt_i32_e32 vcc, s9, v34
	s_and_saveexec_b64 s[4:5], vcc
	s_cbranch_execz .LBB11_12
; %bb.1:
	s_load_dword s18, s[0:1], 0x68
	v_mul_lo_u32 v2, v34, s3
	v_sub_u32_e32 v36, v1, v2
	v_cmp_ne_u32_e64 s[2:3], s11, v36
	v_cmp_gt_i32_e64 s[4:5], s10, v34
	v_cmp_eq_u32_e32 vcc, s11, v36
	s_or_b64 s[4:5], s[4:5], s[2:3]
	s_and_b64 exec, exec, s[4:5]
	s_cbranch_execz .LBB11_12
; %bb.2:
	s_load_dwordx2 s[6:7], s[0:1], 0x20
	s_load_dwordx2 s[4:5], s[0:1], 0x0
	v_ashrrev_i32_e32 v35, 31, v34
	v_ashrrev_i32_e32 v37, 31, v36
	v_mov_b64_e32 v[4:5], v[34:35]
	s_waitcnt lgkmcnt(0)
	v_mov_b64_e32 v[2:3], s[6:7]
	s_and_saveexec_b64 s[6:7], s[2:3]
; %bb.3:
	v_mad_i64_i32 v[4:5], s[12:13], v34, s11, v[36:37]
	v_mov_b64_e32 v[2:3], s[4:5]
; %bb.4:
	s_or_b64 exec, exec, s[6:7]
	v_lshlrev_b32_e32 v0, 4, v0
	v_and_b32_e32 v16, 0x1f0, v0
	v_lshlrev_b64 v[0:1], 10, v[4:5]
	v_lshl_add_u64 v[0:1], v[2:3], 0, v[0:1]
	v_mov_b32_e32 v33, 0
	v_lshlrev_b32_e32 v32, 1, v16
	v_lshl_add_u64 v[0:1], v[0:1], 0, v[32:33]
	global_load_dwordx4 v[6:9], v[0:1], off
	global_load_dwordx4 v[18:21], v[0:1], off offset:16
	s_waitcnt vmcnt(1)
	v_and_b32_e32 v1, 0xffff0000, v6
	v_lshlrev_b32_e32 v0, 16, v6
	v_and_b32_e32 v3, 0xffff0000, v7
	v_lshlrev_b32_e32 v2, 16, v7
	;; [unrolled: 2-line block ×4, first 2 shown]
	s_waitcnt vmcnt(0)
	v_and_b32_e32 v9, 0xffff0000, v18
	v_lshlrev_b32_e32 v8, 16, v18
	v_and_b32_e32 v11, 0xffff0000, v19
	v_lshlrev_b32_e32 v10, 16, v19
	;; [unrolled: 2-line block ×4, first 2 shown]
	s_and_saveexec_b64 s[6:7], s[2:3]
	s_cbranch_execz .LBB11_6
; %bb.5:
	v_pk_mul_f32 v[18:19], v[0:1], v[0:1]
	v_pk_mul_f32 v[20:21], v[2:3], v[2:3]
	v_add_f32_e32 v17, v18, v19
	v_add_f32_e32 v17, v17, v20
	v_pk_mul_f32 v[22:23], v[4:5], v[4:5]
	v_add_f32_e32 v17, v17, v21
	v_add_f32_e32 v17, v17, v22
	;; [unrolled: 3-line block ×4, first 2 shown]
	v_pk_mul_f32 v[28:29], v[10:11], v[10:11]
	v_add_f32_e32 v17, v17, v27
	v_mbcnt_lo_u32_b32 v18, -1, 0
	v_add_f32_e32 v17, v17, v28
	v_mbcnt_hi_u32_b32 v18, -1, v18
	v_pk_mul_f32 v[30:31], v[12:13], v[12:13]
	v_add_f32_e32 v17, v17, v29
	v_and_b32_e32 v19, 0x60, v18
	v_add_f32_e32 v17, v17, v30
	v_add_u32_e32 v19, 32, v19
	v_xor_b32_e32 v20, 16, v18
	v_pk_mul_f32 v[38:39], v[14:15], v[14:15]
	v_add_f32_e32 v17, v17, v31
	v_cmp_lt_i32_e64 s[2:3], v20, v19
	v_add_f32_e32 v17, v17, v38
	v_add_f32_e32 v17, v17, v39
	v_cndmask_b32_e64 v20, v18, v20, s[2:3]
	v_lshlrev_b32_e32 v20, 2, v20
	ds_bpermute_b32 v20, v20, v17
	s_waitcnt lgkmcnt(0)
	v_add_f32_e32 v17, v17, v20
	v_xor_b32_e32 v20, 8, v18
	v_cmp_lt_i32_e64 s[2:3], v20, v19
	s_nop 1
	v_cndmask_b32_e64 v20, v18, v20, s[2:3]
	v_lshlrev_b32_e32 v20, 2, v20
	ds_bpermute_b32 v20, v20, v17
	s_waitcnt lgkmcnt(0)
	v_add_f32_e32 v17, v17, v20
	v_xor_b32_e32 v20, 4, v18
	v_cmp_lt_i32_e64 s[2:3], v20, v19
	s_nop 1
	v_cndmask_b32_e64 v20, v18, v20, s[2:3]
	v_lshlrev_b32_e32 v20, 2, v20
	ds_bpermute_b32 v20, v20, v17
	s_waitcnt lgkmcnt(0)
	v_add_f32_e32 v17, v17, v20
	v_xor_b32_e32 v20, 2, v18
	v_cmp_lt_i32_e64 s[2:3], v20, v19
	s_nop 1
	v_cndmask_b32_e64 v20, v18, v20, s[2:3]
	v_lshlrev_b32_e32 v20, 2, v20
	ds_bpermute_b32 v20, v20, v17
	s_waitcnt lgkmcnt(0)
	v_add_f32_e32 v17, v17, v20
	v_xor_b32_e32 v20, 1, v18
	v_cmp_lt_i32_e64 s[2:3], v20, v19
	s_nop 1
	v_cndmask_b32_e64 v18, v18, v20, s[2:3]
	v_lshlrev_b32_e32 v18, 2, v18
	ds_bpermute_b32 v18, v18, v17
	s_mov_b32 s2, 0x800000
	s_waitcnt lgkmcnt(0)
	v_add_f32_e32 v17, v17, v18
	v_mov_b32_e32 v18, s8
	v_fmamk_f32 v17, v17, 0x3b000000, v18
	v_mul_f32_e32 v18, 0x4b800000, v17
	v_cmp_gt_f32_e64 s[2:3], s2, v17
	s_nop 1
	v_cndmask_b32_e64 v17, v17, v18, s[2:3]
	v_rsq_f32_e32 v17, v17
	s_nop 0
	v_mul_f32_e32 v18, 0x45800000, v17
	v_cndmask_b32_e64 v18, v17, v18, s[2:3]
	v_pk_mul_f32 v[14:15], v[18:19], v[14:15] op_sel_hi:[0,1]
	v_pk_mul_f32 v[12:13], v[18:19], v[12:13] op_sel_hi:[0,1]
	;; [unrolled: 1-line block ×8, first 2 shown]
.LBB11_6:
	s_or_b64 exec, exec, s[6:7]
	s_movk_i32 s2, 0x1bf
	v_cmp_lt_u32_e64 s[2:3], s2, v16
	s_and_saveexec_b64 s[6:7], s[2:3]
	s_cbranch_execz .LBB11_8
; %bb.7:
	s_load_dwordx4 s[12:15], s[0:1], 0x38
	v_add_u32_e32 v16, 0xfffffe40, v16
	v_mov_b32_e32 v17, 0
	v_lshrrev_b32_e32 v16, 1, v16
	s_waitcnt lgkmcnt(0)
	v_lshl_add_u64 v[18:19], v[34:35], 3, s[12:13]
	global_load_dwordx2 v[18:19], v[18:19], off
	s_waitcnt vmcnt(0)
	v_lshlrev_b64 v[18:19], 8, v[18:19]
	v_lshl_add_u64 v[18:19], s[14:15], 0, v[18:19]
	v_lshl_add_u64 v[16:17], v[16:17], 2, v[18:19]
	global_load_dwordx4 v[38:41], v[16:17], off offset:128
	global_load_dwordx4 v[42:45], v[16:17], off
	global_load_dwordx4 v[46:49], v[16:17], off offset:144
	global_load_dwordx4 v[50:53], v[16:17], off offset:16
	s_waitcnt vmcnt(3)
	v_mul_f32_e32 v16, v38, v1
	s_waitcnt vmcnt(2)
	v_mul_f32_e32 v17, v42, v1
	v_mul_f32_e32 v1, v39, v3
	;; [unrolled: 1-line block ×7, first 2 shown]
	s_waitcnt vmcnt(1)
	v_mul_f32_e32 v7, v46, v9
	s_waitcnt vmcnt(0)
	v_mul_f32_e32 v25, v50, v9
	v_mul_f32_e32 v9, v47, v11
	;; [unrolled: 1-line block ×7, first 2 shown]
	v_fma_f32 v16, v42, v0, -v16
	v_fmac_f32_e32 v17, v38, v0
	v_fma_f32 v18, v43, v2, -v1
	v_fmac_f32_e32 v19, v39, v2
	;; [unrolled: 2-line block ×8, first 2 shown]
	v_mov_b64_e32 v[0:1], v[16:17]
	v_mov_b64_e32 v[2:3], v[18:19]
	v_mov_b64_e32 v[4:5], v[20:21]
	v_mov_b64_e32 v[6:7], v[22:23]
	v_mov_b64_e32 v[8:9], v[24:25]
	v_mov_b64_e32 v[10:11], v[26:27]
	v_mov_b64_e32 v[12:13], v[28:29]
	v_mov_b64_e32 v[14:15], v[30:31]
.LBB11_8:
	s_or_b64 exec, exec, s[6:7]
	s_mov_b64 s[2:3], 0
                                        ; implicit-def: $vgpr38_vgpr39
                                        ; implicit-def: $vgpr28_vgpr29_vgpr30_vgpr31
                                        ; implicit-def: $vgpr24_vgpr25_vgpr26_vgpr27
                                        ; implicit-def: $vgpr20_vgpr21_vgpr22_vgpr23
                                        ; implicit-def: $vgpr16_vgpr17_vgpr18_vgpr19
	s_and_saveexec_b64 s[6:7], vcc
	s_xor_b64 s[6:7], exec, s[6:7]
	s_cbranch_execnz .LBB11_13
; %bb.9:
	s_andn2_saveexec_b64 s[0:1], s[6:7]
	s_cbranch_execnz .LBB11_84
.LBB11_10:
	s_or_b64 exec, exec, s[0:1]
	s_and_b64 exec, exec, s[2:3]
	s_cbranch_execz .LBB11_12
.LBB11_11:
	v_mov_b32_e32 v33, 0
	s_mov_b32 s0, 0x7060302
	v_lshl_add_u64 v[4:5], v[38:39], 0, v[32:33]
	v_perm_b32 v3, v23, v22, s0
	v_perm_b32 v2, v21, v20, s0
	;; [unrolled: 1-line block ×4, first 2 shown]
	global_store_dwordx4 v[4:5], v[0:3], off
	s_nop 1
	v_perm_b32 v3, v31, v30, s0
	v_perm_b32 v2, v29, v28, s0
	;; [unrolled: 1-line block ×4, first 2 shown]
	global_store_dwordx4 v[4:5], v[0:3], off offset:16
.LBB11_12:
	s_endpgm
.LBB11_13:
	s_load_dwordx2 s[2:3], s[0:1], 0x30
                                        ; implicit-def: $vgpr38_vgpr39
                                        ; implicit-def: $vgpr28_vgpr29_vgpr30_vgpr31
                                        ; implicit-def: $vgpr24_vgpr25_vgpr26_vgpr27
                                        ; implicit-def: $vgpr20_vgpr21_vgpr22_vgpr23
	s_waitcnt lgkmcnt(0)
	v_lshl_add_u64 v[16:17], v[34:35], 3, s[2:3]
	global_load_dwordx2 v[34:35], v[16:17], off
	s_mov_b64 s[2:3], 0
                                        ; implicit-def: $vgpr16_vgpr17_vgpr18_vgpr19
	s_waitcnt vmcnt(0)
	v_cmp_lt_i64_e32 vcc, -1, v[34:35]
	s_and_saveexec_b64 s[8:9], vcc
	s_cbranch_execz .LBB11_83
; %bb.14:
	s_ashr_i32 s10, s18, 31
	v_or_b32_e32 v17, s10, v35
	v_mov_b32_e32 v16, 0
	v_cmp_ne_u64_e32 vcc, 0, v[16:17]
                                        ; implicit-def: $vgpr36_vgpr37
	s_and_saveexec_b64 s[2:3], vcc
	s_xor_b64 s[12:13], exec, s[2:3]
	s_cbranch_execz .LBB11_16
; %bb.15:
	s_add_u32 s2, s18, s10
	s_mov_b32 s14, s10
	s_mov_b32 s15, s10
	s_addc_u32 s3, s10, s10
	s_xor_b64 s[16:17], s[2:3], s[14:15]
	v_cvt_f32_u32_e32 v17, s16
	v_cvt_f32_u32_e32 v18, s17
	s_sub_u32 s2, 0, s16
	s_subb_u32 s3, 0, s17
	v_mov_b32_e32 v21, v16
	v_fmamk_f32 v17, v18, 0x4f800000, v17
	v_rcp_f32_e32 v17, v17
	s_nop 0
	v_mul_f32_e32 v17, 0x5f7ffffc, v17
	v_mul_f32_e32 v18, 0x2f800000, v17
	v_trunc_f32_e32 v18, v18
	v_fmamk_f32 v17, v18, 0xcf800000, v17
	v_cvt_u32_f32_e32 v22, v18
	v_cvt_u32_f32_e32 v17, v17
	v_mul_lo_u32 v18, s2, v22
	v_mul_hi_u32 v20, s2, v17
	v_mul_lo_u32 v19, s3, v17
	v_add_u32_e32 v18, v20, v18
	v_mul_lo_u32 v23, s2, v17
	v_add_u32_e32 v24, v18, v19
	v_mul_hi_u32 v19, v17, v24
	v_mul_lo_u32 v18, v17, v24
	v_mul_hi_u32 v20, v17, v23
	v_lshl_add_u64 v[18:19], v[20:21], 0, v[18:19]
	v_mul_hi_u32 v21, v22, v23
	v_mul_lo_u32 v23, v22, v23
	v_add_co_u32_e32 v18, vcc, v18, v23
	v_mul_hi_u32 v20, v22, v24
	s_nop 0
	v_addc_co_u32_e32 v18, vcc, v19, v21, vcc
	v_mov_b32_e32 v19, v16
	s_nop 0
	v_addc_co_u32_e32 v21, vcc, 0, v20, vcc
	v_mul_lo_u32 v20, v22, v24
	v_lshl_add_u64 v[18:19], v[18:19], 0, v[20:21]
	v_add_co_u32_e32 v17, vcc, v17, v18
	v_mul_lo_u32 v20, s2, v17
	s_nop 0
	v_addc_co_u32_e32 v22, vcc, v22, v19, vcc
	v_mul_lo_u32 v18, s2, v22
	v_mul_hi_u32 v19, s2, v17
	v_add_u32_e32 v18, v19, v18
	v_mul_lo_u32 v19, s3, v17
	v_add_u32_e32 v23, v18, v19
	v_mul_hi_u32 v25, v22, v20
	v_mul_lo_u32 v26, v22, v20
	v_mul_hi_u32 v19, v17, v23
	v_mul_lo_u32 v18, v17, v23
	v_mul_hi_u32 v20, v17, v20
	v_mov_b32_e32 v21, v16
	v_lshl_add_u64 v[18:19], v[20:21], 0, v[18:19]
	v_add_co_u32_e32 v18, vcc, v18, v26
	v_mul_hi_u32 v24, v22, v23
	s_nop 0
	v_addc_co_u32_e32 v18, vcc, v19, v25, vcc
	v_mul_lo_u32 v20, v22, v23
	s_nop 0
	v_addc_co_u32_e32 v21, vcc, 0, v24, vcc
	v_mov_b32_e32 v19, v16
	v_lshl_add_u64 v[18:19], v[18:19], 0, v[20:21]
	v_add_co_u32_e32 v17, vcc, v17, v18
	v_ashrrev_i32_e32 v18, 31, v35
	s_nop 0
	v_addc_co_u32_e32 v24, vcc, v22, v19, vcc
	v_mov_b32_e32 v19, v18
	v_lshl_add_u64 v[20:21], v[34:35], 0, v[18:19]
	v_xor_b32_e32 v26, v20, v18
	v_xor_b32_e32 v19, v21, v18
	v_mad_u64_u32 v[20:21], s[2:3], v26, v24, 0
	v_mul_hi_u32 v22, v26, v17
	v_mov_b32_e32 v23, v16
	v_lshl_add_u64 v[20:21], v[22:23], 0, v[20:21]
	v_mad_u64_u32 v[22:23], s[2:3], v19, v24, 0
	v_mad_u64_u32 v[24:25], s[2:3], v19, v17, 0
	v_add_co_u32_e32 v17, vcc, v20, v24
	s_nop 1
	v_addc_co_u32_e32 v20, vcc, v21, v25, vcc
	v_mov_b32_e32 v21, v16
	s_nop 0
	v_addc_co_u32_e32 v23, vcc, 0, v23, vcc
	v_lshl_add_u64 v[16:17], v[20:21], 0, v[22:23]
	v_mul_lo_u32 v22, s17, v16
	v_mul_lo_u32 v23, s16, v17
	v_mad_u64_u32 v[20:21], s[2:3], s16, v16, 0
	v_add3_u32 v24, v21, v23, v22
	v_sub_u32_e32 v21, v19, v24
	v_mov_b32_e32 v22, s17
	v_sub_co_u32_e32 v25, vcc, v26, v20
	s_nop 1
	v_subb_co_u32_e64 v20, s[2:3], v21, v22, vcc
	v_subrev_co_u32_e64 v21, s[2:3], s16, v25
	v_subb_co_u32_e32 v19, vcc, v19, v24, vcc
	s_nop 0
	v_subbrev_co_u32_e64 v20, s[2:3], 0, v20, s[2:3]
	v_cmp_le_u32_e64 s[2:3], s17, v20
	v_cmp_le_u32_e32 vcc, s17, v19
	s_nop 0
	v_cndmask_b32_e64 v22, 0, -1, s[2:3]
	v_cmp_le_u32_e64 s[2:3], s16, v21
	s_nop 1
	v_cndmask_b32_e64 v21, 0, -1, s[2:3]
	v_cmp_eq_u32_e64 s[2:3], s17, v20
	s_nop 1
	v_cndmask_b32_e64 v26, v22, v21, s[2:3]
	v_lshl_add_u64 v[20:21], v[16:17], 0, 2
	v_lshl_add_u64 v[22:23], v[16:17], 0, 1
	v_cmp_ne_u32_e64 s[2:3], 0, v26
	s_nop 1
	v_cndmask_b32_e64 v21, v23, v21, s[2:3]
	v_cndmask_b32_e64 v23, 0, -1, vcc
	v_cmp_le_u32_e32 vcc, s16, v25
	s_nop 1
	v_cndmask_b32_e64 v24, 0, -1, vcc
	v_cmp_eq_u32_e32 vcc, s17, v19
	s_nop 1
	v_cndmask_b32_e32 v19, v23, v24, vcc
	v_cmp_ne_u32_e32 vcc, 0, v19
	v_cndmask_b32_e64 v19, v22, v20, s[2:3]
	s_nop 0
	v_cndmask_b32_e32 v16, v16, v19, vcc
	v_xor_b32_e32 v19, s15, v18
	v_xor_b32_e32 v18, s14, v18
	v_cndmask_b32_e32 v17, v17, v21, vcc
	v_xor_b32_e32 v16, v16, v18
	v_xor_b32_e32 v17, v17, v19
	v_sub_co_u32_e32 v36, vcc, v16, v18
	s_nop 1
	v_subb_co_u32_e32 v37, vcc, v17, v19, vcc
.LBB11_16:
	s_andn2_saveexec_b64 s[2:3], s[12:13]
	s_cbranch_execz .LBB11_18
; %bb.17:
	v_cvt_f32_u32_e32 v16, s18
	s_sub_i32 s12, 0, s18
	v_mov_b32_e32 v37, 0
	v_rcp_iflag_f32_e32 v16, v16
	s_nop 0
	v_mul_f32_e32 v16, 0x4f7ffffe, v16
	v_cvt_u32_f32_e32 v16, v16
	v_mul_lo_u32 v17, s12, v16
	v_mul_hi_u32 v17, v16, v17
	v_add_u32_e32 v16, v16, v17
	v_mul_hi_u32 v16, v34, v16
	v_mul_lo_u32 v17, v16, s18
	v_sub_u32_e32 v17, v34, v17
	v_add_u32_e32 v18, 1, v16
	v_subrev_u32_e32 v19, s18, v17
	v_cmp_le_u32_e32 vcc, s18, v17
	s_nop 1
	v_cndmask_b32_e32 v17, v17, v19, vcc
	v_cndmask_b32_e32 v16, v16, v18, vcc
	v_add_u32_e32 v18, 1, v16
	v_cmp_le_u32_e32 vcc, s18, v17
	s_nop 1
	v_cndmask_b32_e32 v36, v16, v18, vcc
.LBB11_18:
	s_or_b64 exec, exec, s[2:3]
	s_mov_b32 s2, 0x7f800000
	v_and_b32_e32 v16, 0x7f800000, v0
	v_cmp_ne_u32_e32 vcc, s2, v16
                                        ; implicit-def: $vgpr16
	s_and_saveexec_b64 s[2:3], vcc
	s_xor_b64 s[2:3], exec, s[2:3]
; %bb.19:
	v_bfe_u32 v16, v0, 16, 1
	s_movk_i32 s12, 0x7fff
	v_add3_u32 v16, v0, v16, s12
; %bb.20:
	s_andn2_saveexec_b64 s[2:3], s[2:3]
; %bb.21:
	v_mov_b32_e32 v16, 0
	v_or_b32_e32 v17, 0x10000, v0
	v_cmp_eq_u32_sdwa vcc, v0, v16 src0_sel:WORD_0 src1_sel:DWORD
	s_nop 1
	v_cndmask_b32_e32 v16, v17, v0, vcc
; %bb.22:
	s_or_b64 exec, exec, s[2:3]
	s_mov_b32 s2, 0x7f800000
	v_and_b32_e32 v0, 0x7f800000, v1
	v_cmp_ne_u32_e32 vcc, s2, v0
	s_and_saveexec_b64 s[2:3], vcc
	s_xor_b64 s[2:3], exec, s[2:3]
; %bb.23:
	v_bfe_u32 v0, v1, 16, 1
	s_movk_i32 s12, 0x7fff
	v_add3_u32 v17, v1, v0, s12
; %bb.24:
	s_andn2_saveexec_b64 s[2:3], s[2:3]
; %bb.25:
	v_mov_b32_e32 v0, 0
	v_or_b32_e32 v17, 0x10000, v1
	v_cmp_eq_u32_sdwa vcc, v1, v0 src0_sel:WORD_0 src1_sel:DWORD
	s_nop 1
	v_cndmask_b32_e32 v17, v17, v1, vcc
; %bb.26:
	s_or_b64 exec, exec, s[2:3]
	s_mov_b32 s2, 0x7f800000
	v_and_b32_e32 v0, 0x7f800000, v2
	v_cmp_ne_u32_e32 vcc, s2, v0
	;; [unrolled: 19-line block ×4, first 2 shown]
                                        ; implicit-def: $vgpr20
	s_and_saveexec_b64 s[2:3], vcc
	s_xor_b64 s[2:3], exec, s[2:3]
; %bb.35:
	v_bfe_u32 v0, v4, 16, 1
	s_movk_i32 s12, 0x7fff
	v_add3_u32 v20, v4, v0, s12
; %bb.36:
	s_andn2_saveexec_b64 s[2:3], s[2:3]
; %bb.37:
	v_mov_b32_e32 v0, 0
	v_or_b32_e32 v1, 0x10000, v4
	v_cmp_eq_u32_sdwa vcc, v4, v0 src0_sel:WORD_0 src1_sel:DWORD
	s_nop 1
	v_cndmask_b32_e32 v20, v1, v4, vcc
; %bb.38:
	s_or_b64 exec, exec, s[2:3]
	s_mov_b32 s2, 0x7f800000
	v_and_b32_e32 v0, 0x7f800000, v5
	v_cmp_ne_u32_e32 vcc, s2, v0
	s_and_saveexec_b64 s[2:3], vcc
	s_xor_b64 s[2:3], exec, s[2:3]
; %bb.39:
	v_bfe_u32 v0, v5, 16, 1
	s_movk_i32 s12, 0x7fff
	v_add3_u32 v21, v5, v0, s12
; %bb.40:
	s_andn2_saveexec_b64 s[2:3], s[2:3]
; %bb.41:
	v_mov_b32_e32 v0, 0
	v_or_b32_e32 v1, 0x10000, v5
	v_cmp_eq_u32_sdwa vcc, v5, v0 src0_sel:WORD_0 src1_sel:DWORD
	s_nop 1
	v_cndmask_b32_e32 v21, v1, v5, vcc
; %bb.42:
	s_or_b64 exec, exec, s[2:3]
	s_mov_b32 s2, 0x7f800000
	v_and_b32_e32 v0, 0x7f800000, v6
	v_cmp_ne_u32_e32 vcc, s2, v0
	s_and_saveexec_b64 s[2:3], vcc
	s_xor_b64 s[2:3], exec, s[2:3]
; %bb.43:
	v_bfe_u32 v0, v6, 16, 1
	s_movk_i32 s12, 0x7fff
	v_add3_u32 v22, v6, v0, s12
; %bb.44:
	s_andn2_saveexec_b64 s[2:3], s[2:3]
; %bb.45:
	v_mov_b32_e32 v0, 0
	v_or_b32_e32 v1, 0x10000, v6
	v_cmp_eq_u32_sdwa vcc, v6, v0 src0_sel:WORD_0 src1_sel:DWORD
	s_nop 1
	v_cndmask_b32_e32 v22, v1, v6, vcc
; %bb.46:
	s_or_b64 exec, exec, s[2:3]
	s_mov_b32 s2, 0x7f800000
	v_and_b32_e32 v0, 0x7f800000, v7
	v_cmp_ne_u32_e32 vcc, s2, v0
	s_and_saveexec_b64 s[2:3], vcc
	s_xor_b64 s[2:3], exec, s[2:3]
; %bb.47:
	v_bfe_u32 v0, v7, 16, 1
	s_movk_i32 s12, 0x7fff
	v_add3_u32 v23, v7, v0, s12
; %bb.48:
	s_andn2_saveexec_b64 s[2:3], s[2:3]
; %bb.49:
	v_mov_b32_e32 v0, 0
	v_or_b32_e32 v1, 0x10000, v7
	v_cmp_eq_u32_sdwa vcc, v7, v0 src0_sel:WORD_0 src1_sel:DWORD
	s_nop 1
	v_cndmask_b32_e32 v23, v1, v7, vcc
; %bb.50:
	s_or_b64 exec, exec, s[2:3]
	s_mov_b32 s2, 0x7f800000
	v_and_b32_e32 v0, 0x7f800000, v8
	v_cmp_ne_u32_e32 vcc, s2, v0
                                        ; implicit-def: $vgpr24
	s_and_saveexec_b64 s[2:3], vcc
	s_xor_b64 s[2:3], exec, s[2:3]
; %bb.51:
	v_bfe_u32 v0, v8, 16, 1
	s_movk_i32 s12, 0x7fff
	v_add3_u32 v24, v8, v0, s12
; %bb.52:
	s_andn2_saveexec_b64 s[2:3], s[2:3]
; %bb.53:
	v_mov_b32_e32 v0, 0
	v_or_b32_e32 v1, 0x10000, v8
	v_cmp_eq_u32_sdwa vcc, v8, v0 src0_sel:WORD_0 src1_sel:DWORD
	s_nop 1
	v_cndmask_b32_e32 v24, v1, v8, vcc
; %bb.54:
	s_or_b64 exec, exec, s[2:3]
	s_mov_b32 s2, 0x7f800000
	v_and_b32_e32 v0, 0x7f800000, v9
	v_cmp_ne_u32_e32 vcc, s2, v0
	s_and_saveexec_b64 s[2:3], vcc
	s_xor_b64 s[2:3], exec, s[2:3]
; %bb.55:
	v_bfe_u32 v0, v9, 16, 1
	s_movk_i32 s12, 0x7fff
	v_add3_u32 v25, v9, v0, s12
; %bb.56:
	s_andn2_saveexec_b64 s[2:3], s[2:3]
; %bb.57:
	v_mov_b32_e32 v0, 0
	v_or_b32_e32 v1, 0x10000, v9
	v_cmp_eq_u32_sdwa vcc, v9, v0 src0_sel:WORD_0 src1_sel:DWORD
	s_nop 1
	v_cndmask_b32_e32 v25, v1, v9, vcc
; %bb.58:
	s_or_b64 exec, exec, s[2:3]
	s_mov_b32 s2, 0x7f800000
	v_and_b32_e32 v0, 0x7f800000, v10
	v_cmp_ne_u32_e32 vcc, s2, v0
	;; [unrolled: 19-line block ×4, first 2 shown]
                                        ; implicit-def: $vgpr28
	s_and_saveexec_b64 s[2:3], vcc
	s_xor_b64 s[2:3], exec, s[2:3]
; %bb.67:
	v_bfe_u32 v0, v12, 16, 1
	s_movk_i32 s12, 0x7fff
	v_add3_u32 v28, v12, v0, s12
; %bb.68:
	s_andn2_saveexec_b64 s[2:3], s[2:3]
; %bb.69:
	v_mov_b32_e32 v0, 0
	v_or_b32_e32 v1, 0x10000, v12
	v_cmp_eq_u32_sdwa vcc, v12, v0 src0_sel:WORD_0 src1_sel:DWORD
	s_nop 1
	v_cndmask_b32_e32 v28, v1, v12, vcc
; %bb.70:
	s_or_b64 exec, exec, s[2:3]
	s_mov_b32 s2, 0x7f800000
	v_and_b32_e32 v0, 0x7f800000, v13
	v_cmp_ne_u32_e32 vcc, s2, v0
	s_and_saveexec_b64 s[2:3], vcc
	s_xor_b64 s[2:3], exec, s[2:3]
; %bb.71:
	v_bfe_u32 v0, v13, 16, 1
	s_movk_i32 s12, 0x7fff
	v_add3_u32 v29, v13, v0, s12
; %bb.72:
	s_andn2_saveexec_b64 s[2:3], s[2:3]
; %bb.73:
	v_mov_b32_e32 v0, 0
	v_or_b32_e32 v1, 0x10000, v13
	v_cmp_eq_u32_sdwa vcc, v13, v0 src0_sel:WORD_0 src1_sel:DWORD
	s_nop 1
	v_cndmask_b32_e32 v29, v1, v13, vcc
; %bb.74:
	s_or_b64 exec, exec, s[2:3]
	s_mov_b32 s2, 0x7f800000
	v_and_b32_e32 v0, 0x7f800000, v14
	v_cmp_ne_u32_e32 vcc, s2, v0
	s_and_saveexec_b64 s[2:3], vcc
	s_xor_b64 s[2:3], exec, s[2:3]
; %bb.75:
	v_bfe_u32 v0, v14, 16, 1
	s_movk_i32 s12, 0x7fff
	v_add3_u32 v30, v14, v0, s12
; %bb.76:
	s_andn2_saveexec_b64 s[2:3], s[2:3]
; %bb.77:
	v_mov_b32_e32 v0, 0
	v_or_b32_e32 v1, 0x10000, v14
	v_cmp_eq_u32_sdwa vcc, v14, v0 src0_sel:WORD_0 src1_sel:DWORD
	s_nop 1
	v_cndmask_b32_e32 v30, v1, v14, vcc
; %bb.78:
	s_or_b64 exec, exec, s[2:3]
	s_load_dwordx2 s[12:13], s[0:1], 0x28
	s_mov_b32 s2, 0x7f800000
	v_and_b32_e32 v0, 0x7f800000, v15
	v_cmp_ne_u32_e32 vcc, s2, v0
	s_and_saveexec_b64 s[2:3], vcc
	s_xor_b64 s[2:3], exec, s[2:3]
; %bb.79:
	v_bfe_u32 v0, v15, 16, 1
	s_movk_i32 s14, 0x7fff
	v_add3_u32 v31, v15, v0, s14
                                        ; implicit-def: $vgpr0_vgpr1_vgpr2_vgpr3_vgpr4_vgpr5_vgpr6_vgpr7_vgpr8_vgpr9_vgpr10_vgpr11_vgpr12_vgpr13_vgpr14_vgpr15
; %bb.80:
	s_andn2_saveexec_b64 s[2:3], s[2:3]
; %bb.81:
	v_mov_b32_e32 v0, 0
	v_or_b32_e32 v1, 0x10000, v15
	v_cmp_eq_u32_sdwa vcc, v15, v0 src0_sel:WORD_0 src1_sel:DWORD
	s_nop 1
	v_cndmask_b32_e32 v31, v1, v15, vcc
; %bb.82:
	s_or_b64 exec, exec, s[2:3]
	s_load_dwordx4 s[20:23], s[0:1], 0x70
	s_waitcnt lgkmcnt(0)
	v_mov_b64_e32 v[0:1], s[12:13]
	v_mul_lo_u32 v4, v37, s18
	v_mul_lo_u32 v5, v36, s10
	s_mov_b64 s[2:3], exec
	v_mad_u64_u32 v[0:1], s[0:1], v36, s20, v[0:1]
	v_mul_lo_u32 v2, v36, s21
	v_mul_lo_u32 v3, v37, s20
	v_add3_u32 v1, v3, v1, v2
	v_mad_u64_u32 v[2:3], s[0:1], v36, s18, 0
	v_add3_u32 v3, v3, v5, v4
	v_sub_co_u32_e32 v2, vcc, v34, v2
	v_mad_u64_u32 v[38:39], s[0:1], v2, s22, v[0:1]
	s_nop 0
	v_subb_co_u32_e32 v3, vcc, v35, v3, vcc
	v_mul_lo_u32 v0, v2, s23
	v_mul_lo_u32 v1, v3, s22
	v_add3_u32 v39, v1, v39, v0
.LBB11_83:
	s_or_b64 exec, exec, s[8:9]
	s_and_b64 s[2:3], s[2:3], exec
                                        ; implicit-def: $vgpr36
                                        ; implicit-def: $vgpr34_vgpr35
                                        ; implicit-def: $vgpr0_vgpr1_vgpr2_vgpr3_vgpr4_vgpr5_vgpr6_vgpr7_vgpr8_vgpr9_vgpr10_vgpr11_vgpr12_vgpr13_vgpr14_vgpr15
	s_andn2_saveexec_b64 s[0:1], s[6:7]
	s_cbranch_execz .LBB11_10
.LBB11_84:
	s_mov_b32 s6, 0x7f800000
	v_and_b32_e32 v16, 0x7f800000, v0
	v_cmp_ne_u32_e32 vcc, s6, v16
                                        ; implicit-def: $vgpr16
	s_and_saveexec_b64 s[6:7], vcc
	s_xor_b64 s[6:7], exec, s[6:7]
; %bb.85:
	v_bfe_u32 v16, v0, 16, 1
	s_movk_i32 s8, 0x7fff
	v_add3_u32 v16, v0, v16, s8
; %bb.86:
	s_andn2_saveexec_b64 s[6:7], s[6:7]
; %bb.87:
	v_mov_b32_e32 v16, 0
	v_or_b32_e32 v17, 0x10000, v0
	v_cmp_eq_u32_sdwa vcc, v0, v16 src0_sel:WORD_0 src1_sel:DWORD
	s_nop 1
	v_cndmask_b32_e32 v16, v17, v0, vcc
; %bb.88:
	s_or_b64 exec, exec, s[6:7]
	s_mov_b32 s6, 0x7f800000
	v_and_b32_e32 v0, 0x7f800000, v1
	v_cmp_ne_u32_e32 vcc, s6, v0
	s_and_saveexec_b64 s[6:7], vcc
	s_xor_b64 s[6:7], exec, s[6:7]
; %bb.89:
	v_bfe_u32 v0, v1, 16, 1
	s_movk_i32 s8, 0x7fff
	v_add3_u32 v17, v1, v0, s8
; %bb.90:
	s_andn2_saveexec_b64 s[6:7], s[6:7]
; %bb.91:
	v_mov_b32_e32 v0, 0
	v_or_b32_e32 v17, 0x10000, v1
	v_cmp_eq_u32_sdwa vcc, v1, v0 src0_sel:WORD_0 src1_sel:DWORD
	s_nop 1
	v_cndmask_b32_e32 v17, v17, v1, vcc
; %bb.92:
	s_or_b64 exec, exec, s[6:7]
	s_mov_b32 s6, 0x7f800000
	v_and_b32_e32 v0, 0x7f800000, v2
	v_cmp_ne_u32_e32 vcc, s6, v0
	;; [unrolled: 19-line block ×4, first 2 shown]
                                        ; implicit-def: $vgpr20
	s_and_saveexec_b64 s[6:7], vcc
	s_xor_b64 s[6:7], exec, s[6:7]
; %bb.101:
	v_bfe_u32 v0, v4, 16, 1
	s_movk_i32 s8, 0x7fff
	v_add3_u32 v20, v4, v0, s8
; %bb.102:
	s_andn2_saveexec_b64 s[6:7], s[6:7]
; %bb.103:
	v_mov_b32_e32 v0, 0
	v_or_b32_e32 v1, 0x10000, v4
	v_cmp_eq_u32_sdwa vcc, v4, v0 src0_sel:WORD_0 src1_sel:DWORD
	s_nop 1
	v_cndmask_b32_e32 v20, v1, v4, vcc
; %bb.104:
	s_or_b64 exec, exec, s[6:7]
	s_mov_b32 s6, 0x7f800000
	v_and_b32_e32 v0, 0x7f800000, v5
	v_cmp_ne_u32_e32 vcc, s6, v0
	s_and_saveexec_b64 s[6:7], vcc
	s_xor_b64 s[6:7], exec, s[6:7]
; %bb.105:
	v_bfe_u32 v0, v5, 16, 1
	s_movk_i32 s8, 0x7fff
	v_add3_u32 v21, v5, v0, s8
; %bb.106:
	s_andn2_saveexec_b64 s[6:7], s[6:7]
; %bb.107:
	v_mov_b32_e32 v0, 0
	v_or_b32_e32 v1, 0x10000, v5
	v_cmp_eq_u32_sdwa vcc, v5, v0 src0_sel:WORD_0 src1_sel:DWORD
	s_nop 1
	v_cndmask_b32_e32 v21, v1, v5, vcc
; %bb.108:
	s_or_b64 exec, exec, s[6:7]
	s_mov_b32 s6, 0x7f800000
	v_and_b32_e32 v0, 0x7f800000, v6
	v_cmp_ne_u32_e32 vcc, s6, v0
	s_and_saveexec_b64 s[6:7], vcc
	s_xor_b64 s[6:7], exec, s[6:7]
; %bb.109:
	v_bfe_u32 v0, v6, 16, 1
	s_movk_i32 s8, 0x7fff
	v_add3_u32 v22, v6, v0, s8
; %bb.110:
	s_andn2_saveexec_b64 s[6:7], s[6:7]
; %bb.111:
	v_mov_b32_e32 v0, 0
	v_or_b32_e32 v1, 0x10000, v6
	v_cmp_eq_u32_sdwa vcc, v6, v0 src0_sel:WORD_0 src1_sel:DWORD
	s_nop 1
	v_cndmask_b32_e32 v22, v1, v6, vcc
; %bb.112:
	s_or_b64 exec, exec, s[6:7]
	s_mov_b32 s6, 0x7f800000
	v_and_b32_e32 v0, 0x7f800000, v7
	v_cmp_ne_u32_e32 vcc, s6, v0
	s_and_saveexec_b64 s[6:7], vcc
	s_xor_b64 s[6:7], exec, s[6:7]
; %bb.113:
	v_bfe_u32 v0, v7, 16, 1
	s_movk_i32 s8, 0x7fff
	v_add3_u32 v23, v7, v0, s8
; %bb.114:
	s_andn2_saveexec_b64 s[6:7], s[6:7]
; %bb.115:
	v_mov_b32_e32 v0, 0
	v_or_b32_e32 v1, 0x10000, v7
	v_cmp_eq_u32_sdwa vcc, v7, v0 src0_sel:WORD_0 src1_sel:DWORD
	s_nop 1
	v_cndmask_b32_e32 v23, v1, v7, vcc
; %bb.116:
	s_or_b64 exec, exec, s[6:7]
	s_mov_b32 s6, 0x7f800000
	v_and_b32_e32 v0, 0x7f800000, v8
	v_cmp_ne_u32_e32 vcc, s6, v0
                                        ; implicit-def: $vgpr24
	s_and_saveexec_b64 s[6:7], vcc
	s_xor_b64 s[6:7], exec, s[6:7]
; %bb.117:
	v_bfe_u32 v0, v8, 16, 1
	s_movk_i32 s8, 0x7fff
	v_add3_u32 v24, v8, v0, s8
; %bb.118:
	s_andn2_saveexec_b64 s[6:7], s[6:7]
; %bb.119:
	v_mov_b32_e32 v0, 0
	v_or_b32_e32 v1, 0x10000, v8
	v_cmp_eq_u32_sdwa vcc, v8, v0 src0_sel:WORD_0 src1_sel:DWORD
	s_nop 1
	v_cndmask_b32_e32 v24, v1, v8, vcc
; %bb.120:
	s_or_b64 exec, exec, s[6:7]
	s_mov_b32 s6, 0x7f800000
	v_and_b32_e32 v0, 0x7f800000, v9
	v_cmp_ne_u32_e32 vcc, s6, v0
	s_and_saveexec_b64 s[6:7], vcc
	s_xor_b64 s[6:7], exec, s[6:7]
; %bb.121:
	v_bfe_u32 v0, v9, 16, 1
	s_movk_i32 s8, 0x7fff
	v_add3_u32 v25, v9, v0, s8
; %bb.122:
	s_andn2_saveexec_b64 s[6:7], s[6:7]
; %bb.123:
	v_mov_b32_e32 v0, 0
	v_or_b32_e32 v1, 0x10000, v9
	v_cmp_eq_u32_sdwa vcc, v9, v0 src0_sel:WORD_0 src1_sel:DWORD
	s_nop 1
	v_cndmask_b32_e32 v25, v1, v9, vcc
; %bb.124:
	s_or_b64 exec, exec, s[6:7]
	s_mov_b32 s6, 0x7f800000
	v_and_b32_e32 v0, 0x7f800000, v10
	v_cmp_ne_u32_e32 vcc, s6, v0
	;; [unrolled: 19-line block ×4, first 2 shown]
                                        ; implicit-def: $vgpr28
	s_and_saveexec_b64 s[6:7], vcc
	s_xor_b64 s[6:7], exec, s[6:7]
; %bb.133:
	v_bfe_u32 v0, v12, 16, 1
	s_movk_i32 s8, 0x7fff
	v_add3_u32 v28, v12, v0, s8
; %bb.134:
	s_andn2_saveexec_b64 s[6:7], s[6:7]
; %bb.135:
	v_mov_b32_e32 v0, 0
	v_or_b32_e32 v1, 0x10000, v12
	v_cmp_eq_u32_sdwa vcc, v12, v0 src0_sel:WORD_0 src1_sel:DWORD
	s_nop 1
	v_cndmask_b32_e32 v28, v1, v12, vcc
; %bb.136:
	s_or_b64 exec, exec, s[6:7]
	s_mov_b32 s6, 0x7f800000
	v_and_b32_e32 v0, 0x7f800000, v13
	v_cmp_ne_u32_e32 vcc, s6, v0
	s_and_saveexec_b64 s[6:7], vcc
	s_xor_b64 s[6:7], exec, s[6:7]
; %bb.137:
	v_bfe_u32 v0, v13, 16, 1
	s_movk_i32 s8, 0x7fff
	v_add3_u32 v29, v13, v0, s8
; %bb.138:
	s_andn2_saveexec_b64 s[6:7], s[6:7]
; %bb.139:
	v_mov_b32_e32 v0, 0
	v_or_b32_e32 v1, 0x10000, v13
	v_cmp_eq_u32_sdwa vcc, v13, v0 src0_sel:WORD_0 src1_sel:DWORD
	s_nop 1
	v_cndmask_b32_e32 v29, v1, v13, vcc
; %bb.140:
	s_or_b64 exec, exec, s[6:7]
	s_mov_b32 s6, 0x7f800000
	v_and_b32_e32 v0, 0x7f800000, v14
	v_cmp_ne_u32_e32 vcc, s6, v0
	;; [unrolled: 19-line block ×3, first 2 shown]
	s_and_saveexec_b64 s[6:7], vcc
	s_xor_b64 s[6:7], exec, s[6:7]
; %bb.145:
	v_bfe_u32 v0, v15, 16, 1
	s_movk_i32 s8, 0x7fff
	v_add3_u32 v31, v15, v0, s8
                                        ; implicit-def: $vgpr0_vgpr1_vgpr2_vgpr3_vgpr4_vgpr5_vgpr6_vgpr7_vgpr8_vgpr9_vgpr10_vgpr11_vgpr12_vgpr13_vgpr14_vgpr15
; %bb.146:
	s_andn2_saveexec_b64 s[6:7], s[6:7]
; %bb.147:
	v_mov_b32_e32 v0, 0
	v_or_b32_e32 v1, 0x10000, v15
	v_cmp_eq_u32_sdwa vcc, v15, v0 src0_sel:WORD_0 src1_sel:DWORD
	s_nop 1
	v_cndmask_b32_e32 v31, v1, v15, vcc
; %bb.148:
	s_or_b64 exec, exec, s[6:7]
	v_mad_i64_i32 v[0:1], s[6:7], v34, s11, v[36:37]
	v_lshlrev_b64 v[0:1], 10, v[0:1]
	v_lshl_add_u64 v[38:39], s[4:5], 0, v[0:1]
	s_or_b64 s[2:3], s[2:3], exec
	s_or_b64 exec, exec, s[0:1]
	s_and_b64 exec, exec, s[2:3]
	s_cbranch_execnz .LBB11_11
	s_branch .LBB11_12
	.section	.rodata,"a",@progbits
	.p2align	6, 0x0
	.amdhsa_kernel _ZN4vllm21deepseek_v4_fused_ops30fusedDeepseekV4FullCacheKernelIN3c108BFloat16ELb0ELb0EEEvPT_PhllPKS4_S6_PKlSA_PKfSC_SC_fiiiill
		.amdhsa_group_segment_fixed_size 0
		.amdhsa_private_segment_fixed_size 0
		.amdhsa_kernarg_size 384
		.amdhsa_user_sgpr_count 2
		.amdhsa_user_sgpr_dispatch_ptr 0
		.amdhsa_user_sgpr_queue_ptr 0
		.amdhsa_user_sgpr_kernarg_segment_ptr 1
		.amdhsa_user_sgpr_dispatch_id 0
		.amdhsa_user_sgpr_kernarg_preload_length 0
		.amdhsa_user_sgpr_kernarg_preload_offset 0
		.amdhsa_user_sgpr_private_segment_size 0
		.amdhsa_uses_dynamic_stack 0
		.amdhsa_enable_private_segment 0
		.amdhsa_system_sgpr_workgroup_id_x 1
		.amdhsa_system_sgpr_workgroup_id_y 0
		.amdhsa_system_sgpr_workgroup_id_z 0
		.amdhsa_system_sgpr_workgroup_info 0
		.amdhsa_system_vgpr_workitem_id 0
		.amdhsa_next_free_vgpr 54
		.amdhsa_next_free_sgpr 24
		.amdhsa_accum_offset 56
		.amdhsa_reserve_vcc 1
		.amdhsa_float_round_mode_32 0
		.amdhsa_float_round_mode_16_64 0
		.amdhsa_float_denorm_mode_32 3
		.amdhsa_float_denorm_mode_16_64 3
		.amdhsa_dx10_clamp 1
		.amdhsa_ieee_mode 1
		.amdhsa_fp16_overflow 0
		.amdhsa_tg_split 0
		.amdhsa_exception_fp_ieee_invalid_op 0
		.amdhsa_exception_fp_denorm_src 0
		.amdhsa_exception_fp_ieee_div_zero 0
		.amdhsa_exception_fp_ieee_overflow 0
		.amdhsa_exception_fp_ieee_underflow 0
		.amdhsa_exception_fp_ieee_inexact 0
		.amdhsa_exception_int_div_zero 0
	.end_amdhsa_kernel
	.section	.text._ZN4vllm21deepseek_v4_fused_ops30fusedDeepseekV4FullCacheKernelIN3c108BFloat16ELb0ELb0EEEvPT_PhllPKS4_S6_PKlSA_PKfSC_SC_fiiiill,"axG",@progbits,_ZN4vllm21deepseek_v4_fused_ops30fusedDeepseekV4FullCacheKernelIN3c108BFloat16ELb0ELb0EEEvPT_PhllPKS4_S6_PKlSA_PKfSC_SC_fiiiill,comdat
.Lfunc_end11:
	.size	_ZN4vllm21deepseek_v4_fused_ops30fusedDeepseekV4FullCacheKernelIN3c108BFloat16ELb0ELb0EEEvPT_PhllPKS4_S6_PKlSA_PKfSC_SC_fiiiill, .Lfunc_end11-_ZN4vllm21deepseek_v4_fused_ops30fusedDeepseekV4FullCacheKernelIN3c108BFloat16ELb0ELb0EEEvPT_PhllPKS4_S6_PKlSA_PKfSC_SC_fiiiill
                                        ; -- End function
	.section	.AMDGPU.csdata,"",@progbits
; Kernel info:
; codeLenInByte = 5300
; NumSgprs: 30
; NumVgprs: 54
; NumAgprs: 0
; TotalNumVgprs: 54
; ScratchSize: 0
; MemoryBound: 0
; FloatMode: 240
; IeeeMode: 1
; LDSByteSize: 0 bytes/workgroup (compile time only)
; SGPRBlocks: 3
; VGPRBlocks: 6
; NumSGPRsForWavesPerEU: 30
; NumVGPRsForWavesPerEU: 54
; AccumOffset: 56
; Occupancy: 8
; WaveLimiterHint : 1
; COMPUTE_PGM_RSRC2:SCRATCH_EN: 0
; COMPUTE_PGM_RSRC2:USER_SGPR: 2
; COMPUTE_PGM_RSRC2:TRAP_HANDLER: 0
; COMPUTE_PGM_RSRC2:TGID_X_EN: 1
; COMPUTE_PGM_RSRC2:TGID_Y_EN: 0
; COMPUTE_PGM_RSRC2:TGID_Z_EN: 0
; COMPUTE_PGM_RSRC2:TIDIG_COMP_CNT: 0
; COMPUTE_PGM_RSRC3_GFX90A:ACCUM_OFFSET: 13
; COMPUTE_PGM_RSRC3_GFX90A:TG_SPLIT: 0
	.section	.text._ZN4vllm21deepseek_v4_fused_ops30fusedDeepseekV4FullCacheKernelIN3c104HalfELb1ELb1EEEvPT_PhllPKS4_S6_PKlSA_PKfSC_SC_fiiiill,"axG",@progbits,_ZN4vllm21deepseek_v4_fused_ops30fusedDeepseekV4FullCacheKernelIN3c104HalfELb1ELb1EEEvPT_PhllPKS4_S6_PKlSA_PKfSC_SC_fiiiill,comdat
	.protected	_ZN4vllm21deepseek_v4_fused_ops30fusedDeepseekV4FullCacheKernelIN3c104HalfELb1ELb1EEEvPT_PhllPKS4_S6_PKlSA_PKfSC_SC_fiiiill ; -- Begin function _ZN4vllm21deepseek_v4_fused_ops30fusedDeepseekV4FullCacheKernelIN3c104HalfELb1ELb1EEEvPT_PhllPKS4_S6_PKlSA_PKfSC_SC_fiiiill
	.globl	_ZN4vllm21deepseek_v4_fused_ops30fusedDeepseekV4FullCacheKernelIN3c104HalfELb1ELb1EEEvPT_PhllPKS4_S6_PKlSA_PKfSC_SC_fiiiill
	.p2align	8
	.type	_ZN4vllm21deepseek_v4_fused_ops30fusedDeepseekV4FullCacheKernelIN3c104HalfELb1ELb1EEEvPT_PhllPKS4_S6_PKlSA_PKfSC_SC_fiiiill,@function
_ZN4vllm21deepseek_v4_fused_ops30fusedDeepseekV4FullCacheKernelIN3c104HalfELb1ELb1EEEvPT_PhllPKS4_S6_PKlSA_PKfSC_SC_fiiiill: ; @_ZN4vllm21deepseek_v4_fused_ops30fusedDeepseekV4FullCacheKernelIN3c104HalfELb1ELb1EEEvPT_PhllPKS4_S6_PKlSA_PKfSC_SC_fiiiill
; %bb.0:
	s_load_dwordx4 s[4:7], s[0:1], 0x5c
	s_waitcnt lgkmcnt(0)
	s_load_dword s7, s[0:1], 0x8c
	v_lshrrev_b32_e32 v0, 5, v0
	s_add_i32 s3, s6, 1
	s_abs_i32 s8, s3
	v_cvt_f32_u32_e32 v1, s8
	s_waitcnt lgkmcnt(0)
	s_bfe_u32 s7, s7, 0xb0005
	s_mul_i32 s2, s2, s7
	v_rcp_iflag_f32_e32 v2, v1
	v_add_u32_e32 v1, s2, v0
	s_sub_i32 s2, 0, s8
	v_sub_u32_e32 v3, 0, v1
	v_mul_f32_e32 v2, 0x4f7ffffe, v2
	v_cvt_u32_f32_e32 v2, v2
	v_max_i32_e32 v3, v1, v3
	v_xor_b32_e32 v0, s3, v1
	v_ashrrev_i32_e32 v0, 31, v0
	v_mul_lo_u32 v4, s2, v2
	v_mul_hi_u32 v4, v2, v4
	v_add_u32_e32 v2, v2, v4
	v_mul_hi_u32 v2, v3, v2
	v_mul_lo_u32 v4, v2, s8
	v_sub_u32_e32 v3, v3, v4
	v_add_u32_e32 v5, 1, v2
	v_cmp_le_u32_e32 vcc, s8, v3
	v_subrev_u32_e32 v4, s8, v3
	s_nop 0
	v_cndmask_b32_e32 v2, v2, v5, vcc
	v_cndmask_b32_e32 v3, v3, v4, vcc
	v_add_u32_e32 v4, 1, v2
	v_cmp_le_u32_e32 vcc, s8, v3
	s_nop 1
	v_cndmask_b32_e32 v2, v2, v4, vcc
	v_xor_b32_e32 v2, v2, v0
	v_sub_u32_e32 v0, v2, v0
	v_cmp_gt_i32_e32 vcc, s4, v0
	s_and_saveexec_b64 s[8:9], vcc
	s_cbranch_execz .LBB12_6
; %bb.1:
	v_mul_lo_u32 v2, v0, s3
	v_sub_u32_e32 v1, v1, v2
	v_cmp_ne_u32_e64 s[2:3], s6, v1
	v_cmp_gt_i32_e64 s[4:5], s5, v0
	v_cmp_eq_u32_e32 vcc, s6, v1
	s_or_b64 s[2:3], s[4:5], s[2:3]
	s_and_b64 exec, exec, s[2:3]
	s_cbranch_execz .LBB12_6
; %bb.2:
	s_mov_b64 s[4:5], 0
	s_and_saveexec_b64 s[2:3], vcc
	s_xor_b64 s[2:3], exec, s[2:3]
	s_cbranch_execnz .LBB12_7
; %bb.3:
	s_andn2_saveexec_b64 s[0:1], s[2:3]
	s_cbranch_execnz .LBB12_9
.LBB12_4:
	s_or_b64 exec, exec, s[0:1]
	s_and_b64 exec, exec, s[4:5]
.LBB12_5:
	; divergent unreachable
.LBB12_6:
	s_endpgm
.LBB12_7:
	s_load_dwordx2 s[0:1], s[0:1], 0x30
	v_ashrrev_i32_e32 v1, 31, v0
	s_waitcnt lgkmcnt(0)
	v_lshl_add_u64 v[0:1], v[0:1], 3, s[0:1]
	global_load_dwordx2 v[0:1], v[0:1], off
	s_mov_b64 s[0:1], 0
	s_waitcnt vmcnt(0)
	v_cmp_lt_i64_e32 vcc, -1, v[0:1]
	s_and_saveexec_b64 s[4:5], vcc
	s_xor_b64 s[4:5], exec, s[4:5]
	s_cbranch_execnz .LBB12_10
.LBB12_8:
	s_or_b64 exec, exec, s[4:5]
	s_and_b64 s[4:5], s[0:1], exec
	s_andn2_saveexec_b64 s[0:1], s[2:3]
	s_cbranch_execz .LBB12_4
.LBB12_9:
	s_or_b64 s[4:5], s[4:5], exec
	s_trap 2
	s_or_b64 exec, exec, s[0:1]
	s_and_b64 exec, exec, s[4:5]
	s_cbranch_execnz .LBB12_5
	s_branch .LBB12_6
.LBB12_10:
	s_mov_b64 s[0:1], exec
	s_trap 2
	s_branch .LBB12_8
	.section	.rodata,"a",@progbits
	.p2align	6, 0x0
	.amdhsa_kernel _ZN4vllm21deepseek_v4_fused_ops30fusedDeepseekV4FullCacheKernelIN3c104HalfELb1ELb1EEEvPT_PhllPKS4_S6_PKlSA_PKfSC_SC_fiiiill
		.amdhsa_group_segment_fixed_size 0
		.amdhsa_private_segment_fixed_size 0
		.amdhsa_kernarg_size 384
		.amdhsa_user_sgpr_count 2
		.amdhsa_user_sgpr_dispatch_ptr 0
		.amdhsa_user_sgpr_queue_ptr 0
		.amdhsa_user_sgpr_kernarg_segment_ptr 1
		.amdhsa_user_sgpr_dispatch_id 0
		.amdhsa_user_sgpr_kernarg_preload_length 0
		.amdhsa_user_sgpr_kernarg_preload_offset 0
		.amdhsa_user_sgpr_private_segment_size 0
		.amdhsa_uses_dynamic_stack 0
		.amdhsa_enable_private_segment 0
		.amdhsa_system_sgpr_workgroup_id_x 1
		.amdhsa_system_sgpr_workgroup_id_y 0
		.amdhsa_system_sgpr_workgroup_id_z 0
		.amdhsa_system_sgpr_workgroup_info 0
		.amdhsa_system_vgpr_workitem_id 0
		.amdhsa_next_free_vgpr 6
		.amdhsa_next_free_sgpr 10
		.amdhsa_accum_offset 8
		.amdhsa_reserve_vcc 1
		.amdhsa_float_round_mode_32 0
		.amdhsa_float_round_mode_16_64 0
		.amdhsa_float_denorm_mode_32 3
		.amdhsa_float_denorm_mode_16_64 3
		.amdhsa_dx10_clamp 1
		.amdhsa_ieee_mode 1
		.amdhsa_fp16_overflow 0
		.amdhsa_tg_split 0
		.amdhsa_exception_fp_ieee_invalid_op 0
		.amdhsa_exception_fp_denorm_src 0
		.amdhsa_exception_fp_ieee_div_zero 0
		.amdhsa_exception_fp_ieee_overflow 0
		.amdhsa_exception_fp_ieee_underflow 0
		.amdhsa_exception_fp_ieee_inexact 0
		.amdhsa_exception_int_div_zero 0
	.end_amdhsa_kernel
	.section	.text._ZN4vllm21deepseek_v4_fused_ops30fusedDeepseekV4FullCacheKernelIN3c104HalfELb1ELb1EEEvPT_PhllPKS4_S6_PKlSA_PKfSC_SC_fiiiill,"axG",@progbits,_ZN4vllm21deepseek_v4_fused_ops30fusedDeepseekV4FullCacheKernelIN3c104HalfELb1ELb1EEEvPT_PhllPKS4_S6_PKlSA_PKfSC_SC_fiiiill,comdat
.Lfunc_end12:
	.size	_ZN4vllm21deepseek_v4_fused_ops30fusedDeepseekV4FullCacheKernelIN3c104HalfELb1ELb1EEEvPT_PhllPKS4_S6_PKlSA_PKfSC_SC_fiiiill, .Lfunc_end12-_ZN4vllm21deepseek_v4_fused_ops30fusedDeepseekV4FullCacheKernelIN3c104HalfELb1ELb1EEEvPT_PhllPKS4_S6_PKlSA_PKfSC_SC_fiiiill
                                        ; -- End function
	.section	.AMDGPU.csdata,"",@progbits
; Kernel info:
; codeLenInByte = 380
; NumSgprs: 16
; NumVgprs: 6
; NumAgprs: 0
; TotalNumVgprs: 6
; ScratchSize: 0
; MemoryBound: 0
; FloatMode: 240
; IeeeMode: 1
; LDSByteSize: 0 bytes/workgroup (compile time only)
; SGPRBlocks: 1
; VGPRBlocks: 0
; NumSGPRsForWavesPerEU: 16
; NumVGPRsForWavesPerEU: 6
; AccumOffset: 8
; Occupancy: 8
; WaveLimiterHint : 0
; COMPUTE_PGM_RSRC2:SCRATCH_EN: 0
; COMPUTE_PGM_RSRC2:USER_SGPR: 2
; COMPUTE_PGM_RSRC2:TRAP_HANDLER: 0
; COMPUTE_PGM_RSRC2:TGID_X_EN: 1
; COMPUTE_PGM_RSRC2:TGID_Y_EN: 0
; COMPUTE_PGM_RSRC2:TGID_Z_EN: 0
; COMPUTE_PGM_RSRC2:TIDIG_COMP_CNT: 0
; COMPUTE_PGM_RSRC3_GFX90A:ACCUM_OFFSET: 1
; COMPUTE_PGM_RSRC3_GFX90A:TG_SPLIT: 0
	.section	.text._ZN4vllm21deepseek_v4_fused_ops30fusedDeepseekV4FullCacheKernelIN3c108BFloat16ELb1ELb1EEEvPT_PhllPKS4_S6_PKlSA_PKfSC_SC_fiiiill,"axG",@progbits,_ZN4vllm21deepseek_v4_fused_ops30fusedDeepseekV4FullCacheKernelIN3c108BFloat16ELb1ELb1EEEvPT_PhllPKS4_S6_PKlSA_PKfSC_SC_fiiiill,comdat
	.protected	_ZN4vllm21deepseek_v4_fused_ops30fusedDeepseekV4FullCacheKernelIN3c108BFloat16ELb1ELb1EEEvPT_PhllPKS4_S6_PKlSA_PKfSC_SC_fiiiill ; -- Begin function _ZN4vllm21deepseek_v4_fused_ops30fusedDeepseekV4FullCacheKernelIN3c108BFloat16ELb1ELb1EEEvPT_PhllPKS4_S6_PKlSA_PKfSC_SC_fiiiill
	.globl	_ZN4vllm21deepseek_v4_fused_ops30fusedDeepseekV4FullCacheKernelIN3c108BFloat16ELb1ELb1EEEvPT_PhllPKS4_S6_PKlSA_PKfSC_SC_fiiiill
	.p2align	8
	.type	_ZN4vllm21deepseek_v4_fused_ops30fusedDeepseekV4FullCacheKernelIN3c108BFloat16ELb1ELb1EEEvPT_PhllPKS4_S6_PKlSA_PKfSC_SC_fiiiill,@function
_ZN4vllm21deepseek_v4_fused_ops30fusedDeepseekV4FullCacheKernelIN3c108BFloat16ELb1ELb1EEEvPT_PhllPKS4_S6_PKlSA_PKfSC_SC_fiiiill: ; @_ZN4vllm21deepseek_v4_fused_ops30fusedDeepseekV4FullCacheKernelIN3c108BFloat16ELb1ELb1EEEvPT_PhllPKS4_S6_PKlSA_PKfSC_SC_fiiiill
; %bb.0:
	s_load_dwordx4 s[4:7], s[0:1], 0x5c
	s_waitcnt lgkmcnt(0)
	s_load_dword s7, s[0:1], 0x8c
	v_lshrrev_b32_e32 v0, 5, v0
	s_add_i32 s3, s6, 1
	s_abs_i32 s8, s3
	v_cvt_f32_u32_e32 v1, s8
	s_waitcnt lgkmcnt(0)
	s_bfe_u32 s7, s7, 0xb0005
	s_mul_i32 s2, s2, s7
	v_rcp_iflag_f32_e32 v2, v1
	v_add_u32_e32 v1, s2, v0
	s_sub_i32 s2, 0, s8
	v_sub_u32_e32 v3, 0, v1
	v_mul_f32_e32 v2, 0x4f7ffffe, v2
	v_cvt_u32_f32_e32 v2, v2
	v_max_i32_e32 v3, v1, v3
	v_xor_b32_e32 v0, s3, v1
	v_ashrrev_i32_e32 v0, 31, v0
	v_mul_lo_u32 v4, s2, v2
	v_mul_hi_u32 v4, v2, v4
	v_add_u32_e32 v2, v2, v4
	v_mul_hi_u32 v2, v3, v2
	v_mul_lo_u32 v4, v2, s8
	v_sub_u32_e32 v3, v3, v4
	v_add_u32_e32 v5, 1, v2
	v_cmp_le_u32_e32 vcc, s8, v3
	v_subrev_u32_e32 v4, s8, v3
	s_nop 0
	v_cndmask_b32_e32 v2, v2, v5, vcc
	v_cndmask_b32_e32 v3, v3, v4, vcc
	v_add_u32_e32 v4, 1, v2
	v_cmp_le_u32_e32 vcc, s8, v3
	s_nop 1
	v_cndmask_b32_e32 v2, v2, v4, vcc
	v_xor_b32_e32 v2, v2, v0
	v_sub_u32_e32 v0, v2, v0
	v_cmp_gt_i32_e32 vcc, s4, v0
	s_and_saveexec_b64 s[8:9], vcc
	s_cbranch_execz .LBB13_6
; %bb.1:
	v_mul_lo_u32 v2, v0, s3
	v_sub_u32_e32 v1, v1, v2
	v_cmp_ne_u32_e64 s[2:3], s6, v1
	v_cmp_gt_i32_e64 s[4:5], s5, v0
	v_cmp_eq_u32_e32 vcc, s6, v1
	s_or_b64 s[2:3], s[4:5], s[2:3]
	s_and_b64 exec, exec, s[2:3]
	s_cbranch_execz .LBB13_6
; %bb.2:
	s_mov_b64 s[4:5], 0
	s_and_saveexec_b64 s[2:3], vcc
	s_xor_b64 s[2:3], exec, s[2:3]
	s_cbranch_execnz .LBB13_7
; %bb.3:
	s_andn2_saveexec_b64 s[0:1], s[2:3]
	s_cbranch_execnz .LBB13_9
.LBB13_4:
	s_or_b64 exec, exec, s[0:1]
	s_and_b64 exec, exec, s[4:5]
.LBB13_5:
	; divergent unreachable
.LBB13_6:
	s_endpgm
.LBB13_7:
	s_load_dwordx2 s[0:1], s[0:1], 0x30
	v_ashrrev_i32_e32 v1, 31, v0
	s_waitcnt lgkmcnt(0)
	v_lshl_add_u64 v[0:1], v[0:1], 3, s[0:1]
	global_load_dwordx2 v[0:1], v[0:1], off
	s_mov_b64 s[0:1], 0
	s_waitcnt vmcnt(0)
	v_cmp_lt_i64_e32 vcc, -1, v[0:1]
	s_and_saveexec_b64 s[4:5], vcc
	s_xor_b64 s[4:5], exec, s[4:5]
	s_cbranch_execnz .LBB13_10
.LBB13_8:
	s_or_b64 exec, exec, s[4:5]
	s_and_b64 s[4:5], s[0:1], exec
	s_andn2_saveexec_b64 s[0:1], s[2:3]
	s_cbranch_execz .LBB13_4
.LBB13_9:
	s_or_b64 s[4:5], s[4:5], exec
	s_trap 2
	s_or_b64 exec, exec, s[0:1]
	s_and_b64 exec, exec, s[4:5]
	s_cbranch_execnz .LBB13_5
	s_branch .LBB13_6
.LBB13_10:
	s_mov_b64 s[0:1], exec
	s_trap 2
	s_branch .LBB13_8
	.section	.rodata,"a",@progbits
	.p2align	6, 0x0
	.amdhsa_kernel _ZN4vllm21deepseek_v4_fused_ops30fusedDeepseekV4FullCacheKernelIN3c108BFloat16ELb1ELb1EEEvPT_PhllPKS4_S6_PKlSA_PKfSC_SC_fiiiill
		.amdhsa_group_segment_fixed_size 0
		.amdhsa_private_segment_fixed_size 0
		.amdhsa_kernarg_size 384
		.amdhsa_user_sgpr_count 2
		.amdhsa_user_sgpr_dispatch_ptr 0
		.amdhsa_user_sgpr_queue_ptr 0
		.amdhsa_user_sgpr_kernarg_segment_ptr 1
		.amdhsa_user_sgpr_dispatch_id 0
		.amdhsa_user_sgpr_kernarg_preload_length 0
		.amdhsa_user_sgpr_kernarg_preload_offset 0
		.amdhsa_user_sgpr_private_segment_size 0
		.amdhsa_uses_dynamic_stack 0
		.amdhsa_enable_private_segment 0
		.amdhsa_system_sgpr_workgroup_id_x 1
		.amdhsa_system_sgpr_workgroup_id_y 0
		.amdhsa_system_sgpr_workgroup_id_z 0
		.amdhsa_system_sgpr_workgroup_info 0
		.amdhsa_system_vgpr_workitem_id 0
		.amdhsa_next_free_vgpr 6
		.amdhsa_next_free_sgpr 10
		.amdhsa_accum_offset 8
		.amdhsa_reserve_vcc 1
		.amdhsa_float_round_mode_32 0
		.amdhsa_float_round_mode_16_64 0
		.amdhsa_float_denorm_mode_32 3
		.amdhsa_float_denorm_mode_16_64 3
		.amdhsa_dx10_clamp 1
		.amdhsa_ieee_mode 1
		.amdhsa_fp16_overflow 0
		.amdhsa_tg_split 0
		.amdhsa_exception_fp_ieee_invalid_op 0
		.amdhsa_exception_fp_denorm_src 0
		.amdhsa_exception_fp_ieee_div_zero 0
		.amdhsa_exception_fp_ieee_overflow 0
		.amdhsa_exception_fp_ieee_underflow 0
		.amdhsa_exception_fp_ieee_inexact 0
		.amdhsa_exception_int_div_zero 0
	.end_amdhsa_kernel
	.section	.text._ZN4vllm21deepseek_v4_fused_ops30fusedDeepseekV4FullCacheKernelIN3c108BFloat16ELb1ELb1EEEvPT_PhllPKS4_S6_PKlSA_PKfSC_SC_fiiiill,"axG",@progbits,_ZN4vllm21deepseek_v4_fused_ops30fusedDeepseekV4FullCacheKernelIN3c108BFloat16ELb1ELb1EEEvPT_PhllPKS4_S6_PKlSA_PKfSC_SC_fiiiill,comdat
.Lfunc_end13:
	.size	_ZN4vllm21deepseek_v4_fused_ops30fusedDeepseekV4FullCacheKernelIN3c108BFloat16ELb1ELb1EEEvPT_PhllPKS4_S6_PKlSA_PKfSC_SC_fiiiill, .Lfunc_end13-_ZN4vllm21deepseek_v4_fused_ops30fusedDeepseekV4FullCacheKernelIN3c108BFloat16ELb1ELb1EEEvPT_PhllPKS4_S6_PKlSA_PKfSC_SC_fiiiill
                                        ; -- End function
	.section	.AMDGPU.csdata,"",@progbits
; Kernel info:
; codeLenInByte = 380
; NumSgprs: 16
; NumVgprs: 6
; NumAgprs: 0
; TotalNumVgprs: 6
; ScratchSize: 0
; MemoryBound: 0
; FloatMode: 240
; IeeeMode: 1
; LDSByteSize: 0 bytes/workgroup (compile time only)
; SGPRBlocks: 1
; VGPRBlocks: 0
; NumSGPRsForWavesPerEU: 16
; NumVGPRsForWavesPerEU: 6
; AccumOffset: 8
; Occupancy: 8
; WaveLimiterHint : 0
; COMPUTE_PGM_RSRC2:SCRATCH_EN: 0
; COMPUTE_PGM_RSRC2:USER_SGPR: 2
; COMPUTE_PGM_RSRC2:TRAP_HANDLER: 0
; COMPUTE_PGM_RSRC2:TGID_X_EN: 1
; COMPUTE_PGM_RSRC2:TGID_Y_EN: 0
; COMPUTE_PGM_RSRC2:TGID_Z_EN: 0
; COMPUTE_PGM_RSRC2:TIDIG_COMP_CNT: 0
; COMPUTE_PGM_RSRC3_GFX90A:ACCUM_OFFSET: 1
; COMPUTE_PGM_RSRC3_GFX90A:TG_SPLIT: 0
	.text
	.p2alignl 6, 3212836864
	.fill 256, 4, 3212836864
	.type	__hip_cuid_4818448ee403a0e5,@object ; @__hip_cuid_4818448ee403a0e5
	.section	.bss,"aw",@nobits
	.globl	__hip_cuid_4818448ee403a0e5
__hip_cuid_4818448ee403a0e5:
	.byte	0                               ; 0x0
	.size	__hip_cuid_4818448ee403a0e5, 1

	.ident	"AMD clang version 19.0.0git (https://github.com/RadeonOpenCompute/llvm-project roc-6.4.0 25133 c7fe45cf4b819c5991fe208aaa96edf142730f1d)"
	.section	".note.GNU-stack","",@progbits
	.addrsig
	.addrsig_sym __hip_cuid_4818448ee403a0e5
	.amdgpu_metadata
---
amdhsa.kernels:
  - .agpr_count:     0
    .args:
      - .actual_access:  read_only
        .address_space:  global
        .offset:         0
        .size:           8
        .value_kind:     global_buffer
      - .actual_access:  write_only
        .address_space:  global
        .offset:         8
        .size:           8
        .value_kind:     global_buffer
      - .actual_access:  read_only
        .address_space:  global
        .offset:         16
        .size:           8
        .value_kind:     global_buffer
      - .actual_access:  write_only
        .address_space:  global
        .offset:         24
        .size:           8
        .value_kind:     global_buffer
      - .actual_access:  read_only
        .address_space:  global
        .offset:         32
        .size:           8
        .value_kind:     global_buffer
      - .actual_access:  read_only
        .address_space:  global
        .offset:         40
        .size:           8
        .value_kind:     global_buffer
      - .actual_access:  read_only
        .address_space:  global
        .offset:         48
        .size:           8
        .value_kind:     global_buffer
      - .offset:         56
        .size:           4
        .value_kind:     by_value
      - .offset:         60
        .size:           4
        .value_kind:     by_value
      - .offset:         64
        .size:           4
        .value_kind:     by_value
      - .offset:         68
        .size:           4
        .value_kind:     by_value
      - .offset:         72
        .size:           4
        .value_kind:     by_value
      - .offset:         76
        .size:           4
        .value_kind:     by_value
      - .offset:         80
        .size:           4
        .value_kind:     hidden_block_count_x
      - .offset:         84
        .size:           4
        .value_kind:     hidden_block_count_y
      - .offset:         88
        .size:           4
        .value_kind:     hidden_block_count_z
      - .offset:         92
        .size:           2
        .value_kind:     hidden_group_size_x
      - .offset:         94
        .size:           2
        .value_kind:     hidden_group_size_y
      - .offset:         96
        .size:           2
        .value_kind:     hidden_group_size_z
      - .offset:         98
        .size:           2
        .value_kind:     hidden_remainder_x
      - .offset:         100
        .size:           2
        .value_kind:     hidden_remainder_y
      - .offset:         102
        .size:           2
        .value_kind:     hidden_remainder_z
      - .offset:         120
        .size:           8
        .value_kind:     hidden_global_offset_x
      - .offset:         128
        .size:           8
        .value_kind:     hidden_global_offset_y
      - .offset:         136
        .size:           8
        .value_kind:     hidden_global_offset_z
      - .offset:         144
        .size:           2
        .value_kind:     hidden_grid_dims
    .group_segment_fixed_size: 0
    .kernarg_segment_align: 8
    .kernarg_segment_size: 336
    .language:       OpenCL C
    .language_version:
      - 2
      - 0
    .max_flat_workgroup_size: 1024
    .name:           _ZN4vllm21deepseek_v4_fused_ops47fusedDeepseekV4QNormRopeKVRopeQuantInsertKernelIN3c104HalfELi8EEEvPKT_PS4_S6_PhPKlSA_PKffiiiii
    .private_segment_fixed_size: 0
    .sgpr_count:     30
    .sgpr_spill_count: 0
    .symbol:         _ZN4vllm21deepseek_v4_fused_ops47fusedDeepseekV4QNormRopeKVRopeQuantInsertKernelIN3c104HalfELi8EEEvPKT_PS4_S6_PhPKlSA_PKffiiiii.kd
    .uniform_work_group_size: 1
    .uses_dynamic_stack: false
    .vgpr_count:     46
    .vgpr_spill_count: 0
    .wavefront_size: 64
  - .agpr_count:     0
    .args:
      - .actual_access:  read_only
        .address_space:  global
        .offset:         0
        .size:           8
        .value_kind:     global_buffer
      - .actual_access:  write_only
        .address_space:  global
        .offset:         8
        .size:           8
        .value_kind:     global_buffer
      - .actual_access:  read_only
        .address_space:  global
        .offset:         16
        .size:           8
        .value_kind:     global_buffer
      - .actual_access:  write_only
        .address_space:  global
        .offset:         24
        .size:           8
        .value_kind:     global_buffer
      - .actual_access:  read_only
        .address_space:  global
        .offset:         32
        .size:           8
        .value_kind:     global_buffer
      - .actual_access:  read_only
        .address_space:  global
        .offset:         40
        .size:           8
        .value_kind:     global_buffer
      - .actual_access:  read_only
        .address_space:  global
        .offset:         48
        .size:           8
        .value_kind:     global_buffer
      - .offset:         56
        .size:           4
        .value_kind:     by_value
      - .offset:         60
        .size:           4
        .value_kind:     by_value
      - .offset:         64
        .size:           4
        .value_kind:     by_value
      - .offset:         68
        .size:           4
        .value_kind:     by_value
      - .offset:         72
        .size:           4
        .value_kind:     by_value
      - .offset:         76
        .size:           4
        .value_kind:     by_value
      - .offset:         80
        .size:           4
        .value_kind:     hidden_block_count_x
      - .offset:         84
        .size:           4
        .value_kind:     hidden_block_count_y
      - .offset:         88
        .size:           4
        .value_kind:     hidden_block_count_z
      - .offset:         92
        .size:           2
        .value_kind:     hidden_group_size_x
      - .offset:         94
        .size:           2
        .value_kind:     hidden_group_size_y
      - .offset:         96
        .size:           2
        .value_kind:     hidden_group_size_z
      - .offset:         98
        .size:           2
        .value_kind:     hidden_remainder_x
      - .offset:         100
        .size:           2
        .value_kind:     hidden_remainder_y
      - .offset:         102
        .size:           2
        .value_kind:     hidden_remainder_z
      - .offset:         120
        .size:           8
        .value_kind:     hidden_global_offset_x
      - .offset:         128
        .size:           8
        .value_kind:     hidden_global_offset_y
      - .offset:         136
        .size:           8
        .value_kind:     hidden_global_offset_z
      - .offset:         144
        .size:           2
        .value_kind:     hidden_grid_dims
    .group_segment_fixed_size: 0
    .kernarg_segment_align: 8
    .kernarg_segment_size: 336
    .language:       OpenCL C
    .language_version:
      - 2
      - 0
    .max_flat_workgroup_size: 1024
    .name:           _ZN4vllm21deepseek_v4_fused_ops47fusedDeepseekV4QNormRopeKVRopeQuantInsertKernelIN3c104HalfELi16EEEvPKT_PS4_S6_PhPKlSA_PKffiiiii
    .private_segment_fixed_size: 0
    .sgpr_count:     30
    .sgpr_spill_count: 0
    .symbol:         _ZN4vllm21deepseek_v4_fused_ops47fusedDeepseekV4QNormRopeKVRopeQuantInsertKernelIN3c104HalfELi16EEEvPKT_PS4_S6_PhPKlSA_PKffiiiii.kd
    .uniform_work_group_size: 1
    .uses_dynamic_stack: false
    .vgpr_count:     46
    .vgpr_spill_count: 0
    .wavefront_size: 64
  - .agpr_count:     0
    .args:
      - .actual_access:  read_only
        .address_space:  global
        .offset:         0
        .size:           8
        .value_kind:     global_buffer
      - .actual_access:  write_only
        .address_space:  global
        .offset:         8
        .size:           8
        .value_kind:     global_buffer
      - .actual_access:  read_only
        .address_space:  global
        .offset:         16
        .size:           8
        .value_kind:     global_buffer
      - .actual_access:  write_only
        .address_space:  global
        .offset:         24
        .size:           8
        .value_kind:     global_buffer
      - .actual_access:  read_only
        .address_space:  global
        .offset:         32
        .size:           8
        .value_kind:     global_buffer
      - .actual_access:  read_only
        .address_space:  global
        .offset:         40
        .size:           8
        .value_kind:     global_buffer
      - .actual_access:  read_only
        .address_space:  global
        .offset:         48
        .size:           8
        .value_kind:     global_buffer
      - .offset:         56
        .size:           4
        .value_kind:     by_value
      - .offset:         60
        .size:           4
        .value_kind:     by_value
      - .offset:         64
        .size:           4
        .value_kind:     by_value
      - .offset:         68
        .size:           4
        .value_kind:     by_value
      - .offset:         72
        .size:           4
        .value_kind:     by_value
      - .offset:         76
        .size:           4
        .value_kind:     by_value
      - .offset:         80
        .size:           4
        .value_kind:     hidden_block_count_x
      - .offset:         84
        .size:           4
        .value_kind:     hidden_block_count_y
      - .offset:         88
        .size:           4
        .value_kind:     hidden_block_count_z
      - .offset:         92
        .size:           2
        .value_kind:     hidden_group_size_x
      - .offset:         94
        .size:           2
        .value_kind:     hidden_group_size_y
      - .offset:         96
        .size:           2
        .value_kind:     hidden_group_size_z
      - .offset:         98
        .size:           2
        .value_kind:     hidden_remainder_x
      - .offset:         100
        .size:           2
        .value_kind:     hidden_remainder_y
      - .offset:         102
        .size:           2
        .value_kind:     hidden_remainder_z
      - .offset:         120
        .size:           8
        .value_kind:     hidden_global_offset_x
      - .offset:         128
        .size:           8
        .value_kind:     hidden_global_offset_y
      - .offset:         136
        .size:           8
        .value_kind:     hidden_global_offset_z
      - .offset:         144
        .size:           2
        .value_kind:     hidden_grid_dims
    .group_segment_fixed_size: 0
    .kernarg_segment_align: 8
    .kernarg_segment_size: 336
    .language:       OpenCL C
    .language_version:
      - 2
      - 0
    .max_flat_workgroup_size: 1024
    .name:           _ZN4vllm21deepseek_v4_fused_ops47fusedDeepseekV4QNormRopeKVRopeQuantInsertKernelIN3c104HalfELi32EEEvPKT_PS4_S6_PhPKlSA_PKffiiiii
    .private_segment_fixed_size: 0
    .sgpr_count:     30
    .sgpr_spill_count: 0
    .symbol:         _ZN4vllm21deepseek_v4_fused_ops47fusedDeepseekV4QNormRopeKVRopeQuantInsertKernelIN3c104HalfELi32EEEvPKT_PS4_S6_PhPKlSA_PKffiiiii.kd
    .uniform_work_group_size: 1
    .uses_dynamic_stack: false
    .vgpr_count:     46
    .vgpr_spill_count: 0
    .wavefront_size: 64
  - .agpr_count:     0
    .args:
      - .actual_access:  read_only
        .address_space:  global
        .offset:         0
        .size:           8
        .value_kind:     global_buffer
      - .actual_access:  write_only
        .address_space:  global
        .offset:         8
        .size:           8
        .value_kind:     global_buffer
      - .actual_access:  read_only
        .address_space:  global
        .offset:         16
        .size:           8
        .value_kind:     global_buffer
      - .actual_access:  write_only
        .address_space:  global
        .offset:         24
        .size:           8
        .value_kind:     global_buffer
      - .actual_access:  read_only
        .address_space:  global
        .offset:         32
        .size:           8
        .value_kind:     global_buffer
      - .actual_access:  read_only
        .address_space:  global
        .offset:         40
        .size:           8
        .value_kind:     global_buffer
      - .actual_access:  read_only
        .address_space:  global
        .offset:         48
        .size:           8
        .value_kind:     global_buffer
      - .offset:         56
        .size:           4
        .value_kind:     by_value
      - .offset:         60
        .size:           4
        .value_kind:     by_value
      - .offset:         64
        .size:           4
        .value_kind:     by_value
      - .offset:         68
        .size:           4
        .value_kind:     by_value
      - .offset:         72
        .size:           4
        .value_kind:     by_value
      - .offset:         76
        .size:           4
        .value_kind:     by_value
      - .offset:         80
        .size:           4
        .value_kind:     hidden_block_count_x
      - .offset:         84
        .size:           4
        .value_kind:     hidden_block_count_y
      - .offset:         88
        .size:           4
        .value_kind:     hidden_block_count_z
      - .offset:         92
        .size:           2
        .value_kind:     hidden_group_size_x
      - .offset:         94
        .size:           2
        .value_kind:     hidden_group_size_y
      - .offset:         96
        .size:           2
        .value_kind:     hidden_group_size_z
      - .offset:         98
        .size:           2
        .value_kind:     hidden_remainder_x
      - .offset:         100
        .size:           2
        .value_kind:     hidden_remainder_y
      - .offset:         102
        .size:           2
        .value_kind:     hidden_remainder_z
      - .offset:         120
        .size:           8
        .value_kind:     hidden_global_offset_x
      - .offset:         128
        .size:           8
        .value_kind:     hidden_global_offset_y
      - .offset:         136
        .size:           8
        .value_kind:     hidden_global_offset_z
      - .offset:         144
        .size:           2
        .value_kind:     hidden_grid_dims
    .group_segment_fixed_size: 0
    .kernarg_segment_align: 8
    .kernarg_segment_size: 336
    .language:       OpenCL C
    .language_version:
      - 2
      - 0
    .max_flat_workgroup_size: 1024
    .name:           _ZN4vllm21deepseek_v4_fused_ops47fusedDeepseekV4QNormRopeKVRopeQuantInsertKernelIN3c104HalfELi64EEEvPKT_PS4_S6_PhPKlSA_PKffiiiii
    .private_segment_fixed_size: 0
    .sgpr_count:     30
    .sgpr_spill_count: 0
    .symbol:         _ZN4vllm21deepseek_v4_fused_ops47fusedDeepseekV4QNormRopeKVRopeQuantInsertKernelIN3c104HalfELi64EEEvPKT_PS4_S6_PhPKlSA_PKffiiiii.kd
    .uniform_work_group_size: 1
    .uses_dynamic_stack: false
    .vgpr_count:     46
    .vgpr_spill_count: 0
    .wavefront_size: 64
  - .agpr_count:     0
    .args:
      - .actual_access:  read_only
        .address_space:  global
        .offset:         0
        .size:           8
        .value_kind:     global_buffer
      - .actual_access:  write_only
        .address_space:  global
        .offset:         8
        .size:           8
        .value_kind:     global_buffer
      - .actual_access:  read_only
        .address_space:  global
        .offset:         16
        .size:           8
        .value_kind:     global_buffer
      - .actual_access:  write_only
        .address_space:  global
        .offset:         24
        .size:           8
        .value_kind:     global_buffer
      - .actual_access:  read_only
        .address_space:  global
        .offset:         32
        .size:           8
        .value_kind:     global_buffer
      - .actual_access:  read_only
        .address_space:  global
        .offset:         40
        .size:           8
        .value_kind:     global_buffer
      - .actual_access:  read_only
        .address_space:  global
        .offset:         48
        .size:           8
        .value_kind:     global_buffer
      - .offset:         56
        .size:           4
        .value_kind:     by_value
      - .offset:         60
        .size:           4
        .value_kind:     by_value
      - .offset:         64
        .size:           4
        .value_kind:     by_value
      - .offset:         68
        .size:           4
        .value_kind:     by_value
      - .offset:         72
        .size:           4
        .value_kind:     by_value
      - .offset:         76
        .size:           4
        .value_kind:     by_value
      - .offset:         80
        .size:           4
        .value_kind:     hidden_block_count_x
      - .offset:         84
        .size:           4
        .value_kind:     hidden_block_count_y
      - .offset:         88
        .size:           4
        .value_kind:     hidden_block_count_z
      - .offset:         92
        .size:           2
        .value_kind:     hidden_group_size_x
      - .offset:         94
        .size:           2
        .value_kind:     hidden_group_size_y
      - .offset:         96
        .size:           2
        .value_kind:     hidden_group_size_z
      - .offset:         98
        .size:           2
        .value_kind:     hidden_remainder_x
      - .offset:         100
        .size:           2
        .value_kind:     hidden_remainder_y
      - .offset:         102
        .size:           2
        .value_kind:     hidden_remainder_z
      - .offset:         120
        .size:           8
        .value_kind:     hidden_global_offset_x
      - .offset:         128
        .size:           8
        .value_kind:     hidden_global_offset_y
      - .offset:         136
        .size:           8
        .value_kind:     hidden_global_offset_z
      - .offset:         144
        .size:           2
        .value_kind:     hidden_grid_dims
    .group_segment_fixed_size: 0
    .kernarg_segment_align: 8
    .kernarg_segment_size: 336
    .language:       OpenCL C
    .language_version:
      - 2
      - 0
    .max_flat_workgroup_size: 1024
    .name:           _ZN4vllm21deepseek_v4_fused_ops47fusedDeepseekV4QNormRopeKVRopeQuantInsertKernelIN3c104HalfELi128EEEvPKT_PS4_S6_PhPKlSA_PKffiiiii
    .private_segment_fixed_size: 0
    .sgpr_count:     30
    .sgpr_spill_count: 0
    .symbol:         _ZN4vllm21deepseek_v4_fused_ops47fusedDeepseekV4QNormRopeKVRopeQuantInsertKernelIN3c104HalfELi128EEEvPKT_PS4_S6_PhPKlSA_PKffiiiii.kd
    .uniform_work_group_size: 1
    .uses_dynamic_stack: false
    .vgpr_count:     46
    .vgpr_spill_count: 0
    .wavefront_size: 64
  - .agpr_count:     0
    .args:
      - .actual_access:  read_only
        .address_space:  global
        .offset:         0
        .size:           8
        .value_kind:     global_buffer
      - .actual_access:  write_only
        .address_space:  global
        .offset:         8
        .size:           8
        .value_kind:     global_buffer
      - .actual_access:  read_only
        .address_space:  global
        .offset:         16
        .size:           8
        .value_kind:     global_buffer
      - .actual_access:  write_only
        .address_space:  global
        .offset:         24
        .size:           8
        .value_kind:     global_buffer
      - .actual_access:  read_only
        .address_space:  global
        .offset:         32
        .size:           8
        .value_kind:     global_buffer
      - .actual_access:  read_only
        .address_space:  global
        .offset:         40
        .size:           8
        .value_kind:     global_buffer
      - .actual_access:  read_only
        .address_space:  global
        .offset:         48
        .size:           8
        .value_kind:     global_buffer
      - .offset:         56
        .size:           4
        .value_kind:     by_value
      - .offset:         60
        .size:           4
        .value_kind:     by_value
      - .offset:         64
        .size:           4
        .value_kind:     by_value
      - .offset:         68
        .size:           4
        .value_kind:     by_value
      - .offset:         72
        .size:           4
        .value_kind:     by_value
      - .offset:         76
        .size:           4
        .value_kind:     by_value
      - .offset:         80
        .size:           4
        .value_kind:     hidden_block_count_x
      - .offset:         84
        .size:           4
        .value_kind:     hidden_block_count_y
      - .offset:         88
        .size:           4
        .value_kind:     hidden_block_count_z
      - .offset:         92
        .size:           2
        .value_kind:     hidden_group_size_x
      - .offset:         94
        .size:           2
        .value_kind:     hidden_group_size_y
      - .offset:         96
        .size:           2
        .value_kind:     hidden_group_size_z
      - .offset:         98
        .size:           2
        .value_kind:     hidden_remainder_x
      - .offset:         100
        .size:           2
        .value_kind:     hidden_remainder_y
      - .offset:         102
        .size:           2
        .value_kind:     hidden_remainder_z
      - .offset:         120
        .size:           8
        .value_kind:     hidden_global_offset_x
      - .offset:         128
        .size:           8
        .value_kind:     hidden_global_offset_y
      - .offset:         136
        .size:           8
        .value_kind:     hidden_global_offset_z
      - .offset:         144
        .size:           2
        .value_kind:     hidden_grid_dims
    .group_segment_fixed_size: 0
    .kernarg_segment_align: 8
    .kernarg_segment_size: 336
    .language:       OpenCL C
    .language_version:
      - 2
      - 0
    .max_flat_workgroup_size: 1024
    .name:           _ZN4vllm21deepseek_v4_fused_ops47fusedDeepseekV4QNormRopeKVRopeQuantInsertKernelIN3c108BFloat16ELi8EEEvPKT_PS4_S6_PhPKlSA_PKffiiiii
    .private_segment_fixed_size: 0
    .sgpr_count:     30
    .sgpr_spill_count: 0
    .symbol:         _ZN4vllm21deepseek_v4_fused_ops47fusedDeepseekV4QNormRopeKVRopeQuantInsertKernelIN3c108BFloat16ELi8EEEvPKT_PS4_S6_PhPKlSA_PKffiiiii.kd
    .uniform_work_group_size: 1
    .uses_dynamic_stack: false
    .vgpr_count:     46
    .vgpr_spill_count: 0
    .wavefront_size: 64
  - .agpr_count:     0
    .args:
      - .actual_access:  read_only
        .address_space:  global
        .offset:         0
        .size:           8
        .value_kind:     global_buffer
      - .actual_access:  write_only
        .address_space:  global
        .offset:         8
        .size:           8
        .value_kind:     global_buffer
      - .actual_access:  read_only
        .address_space:  global
        .offset:         16
        .size:           8
        .value_kind:     global_buffer
      - .actual_access:  write_only
        .address_space:  global
        .offset:         24
        .size:           8
        .value_kind:     global_buffer
      - .actual_access:  read_only
        .address_space:  global
        .offset:         32
        .size:           8
        .value_kind:     global_buffer
      - .actual_access:  read_only
        .address_space:  global
        .offset:         40
        .size:           8
        .value_kind:     global_buffer
      - .actual_access:  read_only
        .address_space:  global
        .offset:         48
        .size:           8
        .value_kind:     global_buffer
      - .offset:         56
        .size:           4
        .value_kind:     by_value
      - .offset:         60
        .size:           4
        .value_kind:     by_value
      - .offset:         64
        .size:           4
        .value_kind:     by_value
      - .offset:         68
        .size:           4
        .value_kind:     by_value
      - .offset:         72
        .size:           4
        .value_kind:     by_value
      - .offset:         76
        .size:           4
        .value_kind:     by_value
      - .offset:         80
        .size:           4
        .value_kind:     hidden_block_count_x
      - .offset:         84
        .size:           4
        .value_kind:     hidden_block_count_y
      - .offset:         88
        .size:           4
        .value_kind:     hidden_block_count_z
      - .offset:         92
        .size:           2
        .value_kind:     hidden_group_size_x
      - .offset:         94
        .size:           2
        .value_kind:     hidden_group_size_y
      - .offset:         96
        .size:           2
        .value_kind:     hidden_group_size_z
      - .offset:         98
        .size:           2
        .value_kind:     hidden_remainder_x
      - .offset:         100
        .size:           2
        .value_kind:     hidden_remainder_y
      - .offset:         102
        .size:           2
        .value_kind:     hidden_remainder_z
      - .offset:         120
        .size:           8
        .value_kind:     hidden_global_offset_x
      - .offset:         128
        .size:           8
        .value_kind:     hidden_global_offset_y
      - .offset:         136
        .size:           8
        .value_kind:     hidden_global_offset_z
      - .offset:         144
        .size:           2
        .value_kind:     hidden_grid_dims
    .group_segment_fixed_size: 0
    .kernarg_segment_align: 8
    .kernarg_segment_size: 336
    .language:       OpenCL C
    .language_version:
      - 2
      - 0
    .max_flat_workgroup_size: 1024
    .name:           _ZN4vllm21deepseek_v4_fused_ops47fusedDeepseekV4QNormRopeKVRopeQuantInsertKernelIN3c108BFloat16ELi16EEEvPKT_PS4_S6_PhPKlSA_PKffiiiii
    .private_segment_fixed_size: 0
    .sgpr_count:     30
    .sgpr_spill_count: 0
    .symbol:         _ZN4vllm21deepseek_v4_fused_ops47fusedDeepseekV4QNormRopeKVRopeQuantInsertKernelIN3c108BFloat16ELi16EEEvPKT_PS4_S6_PhPKlSA_PKffiiiii.kd
    .uniform_work_group_size: 1
    .uses_dynamic_stack: false
    .vgpr_count:     46
    .vgpr_spill_count: 0
    .wavefront_size: 64
  - .agpr_count:     0
    .args:
      - .actual_access:  read_only
        .address_space:  global
        .offset:         0
        .size:           8
        .value_kind:     global_buffer
      - .actual_access:  write_only
        .address_space:  global
        .offset:         8
        .size:           8
        .value_kind:     global_buffer
      - .actual_access:  read_only
        .address_space:  global
        .offset:         16
        .size:           8
        .value_kind:     global_buffer
      - .actual_access:  write_only
        .address_space:  global
        .offset:         24
        .size:           8
        .value_kind:     global_buffer
      - .actual_access:  read_only
        .address_space:  global
        .offset:         32
        .size:           8
        .value_kind:     global_buffer
      - .actual_access:  read_only
        .address_space:  global
        .offset:         40
        .size:           8
        .value_kind:     global_buffer
      - .actual_access:  read_only
        .address_space:  global
        .offset:         48
        .size:           8
        .value_kind:     global_buffer
      - .offset:         56
        .size:           4
        .value_kind:     by_value
      - .offset:         60
        .size:           4
        .value_kind:     by_value
      - .offset:         64
        .size:           4
        .value_kind:     by_value
      - .offset:         68
        .size:           4
        .value_kind:     by_value
      - .offset:         72
        .size:           4
        .value_kind:     by_value
      - .offset:         76
        .size:           4
        .value_kind:     by_value
      - .offset:         80
        .size:           4
        .value_kind:     hidden_block_count_x
      - .offset:         84
        .size:           4
        .value_kind:     hidden_block_count_y
      - .offset:         88
        .size:           4
        .value_kind:     hidden_block_count_z
      - .offset:         92
        .size:           2
        .value_kind:     hidden_group_size_x
      - .offset:         94
        .size:           2
        .value_kind:     hidden_group_size_y
      - .offset:         96
        .size:           2
        .value_kind:     hidden_group_size_z
      - .offset:         98
        .size:           2
        .value_kind:     hidden_remainder_x
      - .offset:         100
        .size:           2
        .value_kind:     hidden_remainder_y
      - .offset:         102
        .size:           2
        .value_kind:     hidden_remainder_z
      - .offset:         120
        .size:           8
        .value_kind:     hidden_global_offset_x
      - .offset:         128
        .size:           8
        .value_kind:     hidden_global_offset_y
      - .offset:         136
        .size:           8
        .value_kind:     hidden_global_offset_z
      - .offset:         144
        .size:           2
        .value_kind:     hidden_grid_dims
    .group_segment_fixed_size: 0
    .kernarg_segment_align: 8
    .kernarg_segment_size: 336
    .language:       OpenCL C
    .language_version:
      - 2
      - 0
    .max_flat_workgroup_size: 1024
    .name:           _ZN4vllm21deepseek_v4_fused_ops47fusedDeepseekV4QNormRopeKVRopeQuantInsertKernelIN3c108BFloat16ELi32EEEvPKT_PS4_S6_PhPKlSA_PKffiiiii
    .private_segment_fixed_size: 0
    .sgpr_count:     30
    .sgpr_spill_count: 0
    .symbol:         _ZN4vllm21deepseek_v4_fused_ops47fusedDeepseekV4QNormRopeKVRopeQuantInsertKernelIN3c108BFloat16ELi32EEEvPKT_PS4_S6_PhPKlSA_PKffiiiii.kd
    .uniform_work_group_size: 1
    .uses_dynamic_stack: false
    .vgpr_count:     46
    .vgpr_spill_count: 0
    .wavefront_size: 64
  - .agpr_count:     0
    .args:
      - .actual_access:  read_only
        .address_space:  global
        .offset:         0
        .size:           8
        .value_kind:     global_buffer
      - .actual_access:  write_only
        .address_space:  global
        .offset:         8
        .size:           8
        .value_kind:     global_buffer
      - .actual_access:  read_only
        .address_space:  global
        .offset:         16
        .size:           8
        .value_kind:     global_buffer
      - .actual_access:  write_only
        .address_space:  global
        .offset:         24
        .size:           8
        .value_kind:     global_buffer
      - .actual_access:  read_only
        .address_space:  global
        .offset:         32
        .size:           8
        .value_kind:     global_buffer
      - .actual_access:  read_only
        .address_space:  global
        .offset:         40
        .size:           8
        .value_kind:     global_buffer
      - .actual_access:  read_only
        .address_space:  global
        .offset:         48
        .size:           8
        .value_kind:     global_buffer
      - .offset:         56
        .size:           4
        .value_kind:     by_value
      - .offset:         60
        .size:           4
        .value_kind:     by_value
      - .offset:         64
        .size:           4
        .value_kind:     by_value
      - .offset:         68
        .size:           4
        .value_kind:     by_value
      - .offset:         72
        .size:           4
        .value_kind:     by_value
      - .offset:         76
        .size:           4
        .value_kind:     by_value
      - .offset:         80
        .size:           4
        .value_kind:     hidden_block_count_x
      - .offset:         84
        .size:           4
        .value_kind:     hidden_block_count_y
      - .offset:         88
        .size:           4
        .value_kind:     hidden_block_count_z
      - .offset:         92
        .size:           2
        .value_kind:     hidden_group_size_x
      - .offset:         94
        .size:           2
        .value_kind:     hidden_group_size_y
      - .offset:         96
        .size:           2
        .value_kind:     hidden_group_size_z
      - .offset:         98
        .size:           2
        .value_kind:     hidden_remainder_x
      - .offset:         100
        .size:           2
        .value_kind:     hidden_remainder_y
      - .offset:         102
        .size:           2
        .value_kind:     hidden_remainder_z
      - .offset:         120
        .size:           8
        .value_kind:     hidden_global_offset_x
      - .offset:         128
        .size:           8
        .value_kind:     hidden_global_offset_y
      - .offset:         136
        .size:           8
        .value_kind:     hidden_global_offset_z
      - .offset:         144
        .size:           2
        .value_kind:     hidden_grid_dims
    .group_segment_fixed_size: 0
    .kernarg_segment_align: 8
    .kernarg_segment_size: 336
    .language:       OpenCL C
    .language_version:
      - 2
      - 0
    .max_flat_workgroup_size: 1024
    .name:           _ZN4vllm21deepseek_v4_fused_ops47fusedDeepseekV4QNormRopeKVRopeQuantInsertKernelIN3c108BFloat16ELi64EEEvPKT_PS4_S6_PhPKlSA_PKffiiiii
    .private_segment_fixed_size: 0
    .sgpr_count:     30
    .sgpr_spill_count: 0
    .symbol:         _ZN4vllm21deepseek_v4_fused_ops47fusedDeepseekV4QNormRopeKVRopeQuantInsertKernelIN3c108BFloat16ELi64EEEvPKT_PS4_S6_PhPKlSA_PKffiiiii.kd
    .uniform_work_group_size: 1
    .uses_dynamic_stack: false
    .vgpr_count:     46
    .vgpr_spill_count: 0
    .wavefront_size: 64
  - .agpr_count:     0
    .args:
      - .actual_access:  read_only
        .address_space:  global
        .offset:         0
        .size:           8
        .value_kind:     global_buffer
      - .actual_access:  write_only
        .address_space:  global
        .offset:         8
        .size:           8
        .value_kind:     global_buffer
      - .actual_access:  read_only
        .address_space:  global
        .offset:         16
        .size:           8
        .value_kind:     global_buffer
      - .actual_access:  write_only
        .address_space:  global
        .offset:         24
        .size:           8
        .value_kind:     global_buffer
      - .actual_access:  read_only
        .address_space:  global
        .offset:         32
        .size:           8
        .value_kind:     global_buffer
      - .actual_access:  read_only
        .address_space:  global
        .offset:         40
        .size:           8
        .value_kind:     global_buffer
      - .actual_access:  read_only
        .address_space:  global
        .offset:         48
        .size:           8
        .value_kind:     global_buffer
      - .offset:         56
        .size:           4
        .value_kind:     by_value
      - .offset:         60
        .size:           4
        .value_kind:     by_value
      - .offset:         64
        .size:           4
        .value_kind:     by_value
      - .offset:         68
        .size:           4
        .value_kind:     by_value
      - .offset:         72
        .size:           4
        .value_kind:     by_value
      - .offset:         76
        .size:           4
        .value_kind:     by_value
      - .offset:         80
        .size:           4
        .value_kind:     hidden_block_count_x
      - .offset:         84
        .size:           4
        .value_kind:     hidden_block_count_y
      - .offset:         88
        .size:           4
        .value_kind:     hidden_block_count_z
      - .offset:         92
        .size:           2
        .value_kind:     hidden_group_size_x
      - .offset:         94
        .size:           2
        .value_kind:     hidden_group_size_y
      - .offset:         96
        .size:           2
        .value_kind:     hidden_group_size_z
      - .offset:         98
        .size:           2
        .value_kind:     hidden_remainder_x
      - .offset:         100
        .size:           2
        .value_kind:     hidden_remainder_y
      - .offset:         102
        .size:           2
        .value_kind:     hidden_remainder_z
      - .offset:         120
        .size:           8
        .value_kind:     hidden_global_offset_x
      - .offset:         128
        .size:           8
        .value_kind:     hidden_global_offset_y
      - .offset:         136
        .size:           8
        .value_kind:     hidden_global_offset_z
      - .offset:         144
        .size:           2
        .value_kind:     hidden_grid_dims
    .group_segment_fixed_size: 0
    .kernarg_segment_align: 8
    .kernarg_segment_size: 336
    .language:       OpenCL C
    .language_version:
      - 2
      - 0
    .max_flat_workgroup_size: 1024
    .name:           _ZN4vllm21deepseek_v4_fused_ops47fusedDeepseekV4QNormRopeKVRopeQuantInsertKernelIN3c108BFloat16ELi128EEEvPKT_PS4_S6_PhPKlSA_PKffiiiii
    .private_segment_fixed_size: 0
    .sgpr_count:     30
    .sgpr_spill_count: 0
    .symbol:         _ZN4vllm21deepseek_v4_fused_ops47fusedDeepseekV4QNormRopeKVRopeQuantInsertKernelIN3c108BFloat16ELi128EEEvPKT_PS4_S6_PhPKlSA_PKffiiiii.kd
    .uniform_work_group_size: 1
    .uses_dynamic_stack: false
    .vgpr_count:     46
    .vgpr_spill_count: 0
    .wavefront_size: 64
  - .agpr_count:     0
    .args:
      - .address_space:  global
        .offset:         0
        .size:           8
        .value_kind:     global_buffer
      - .actual_access:  read_only
        .address_space:  global
        .offset:         8
        .size:           8
        .value_kind:     global_buffer
      - .offset:         16
        .size:           8
        .value_kind:     by_value
      - .offset:         24
        .size:           8
        .value_kind:     by_value
      - .actual_access:  read_only
        .address_space:  global
        .offset:         32
        .size:           8
        .value_kind:     global_buffer
      - .actual_access:  write_only
        .address_space:  global
        .offset:         40
        .size:           8
        .value_kind:     global_buffer
      - .actual_access:  read_only
        .address_space:  global
        .offset:         48
        .size:           8
        .value_kind:     global_buffer
      - .actual_access:  read_only
        .address_space:  global
        .offset:         56
        .size:           8
        .value_kind:     global_buffer
      - .actual_access:  read_only
        .address_space:  global
        .offset:         64
        .size:           8
        .value_kind:     global_buffer
      - .actual_access:  read_only
        .address_space:  global
        .offset:         72
        .size:           8
        .value_kind:     global_buffer
      - .actual_access:  read_only
        .address_space:  global
        .offset:         80
        .size:           8
        .value_kind:     global_buffer
      - .offset:         88
        .size:           4
        .value_kind:     by_value
      - .offset:         92
        .size:           4
        .value_kind:     by_value
      - .offset:         96
        .size:           4
        .value_kind:     by_value
      - .offset:         100
        .size:           4
        .value_kind:     by_value
      - .offset:         104
        .size:           4
        .value_kind:     by_value
      - .offset:         112
        .size:           8
        .value_kind:     by_value
      - .offset:         120
        .size:           8
        .value_kind:     by_value
      - .offset:         128
        .size:           4
        .value_kind:     hidden_block_count_x
      - .offset:         132
        .size:           4
        .value_kind:     hidden_block_count_y
      - .offset:         136
        .size:           4
        .value_kind:     hidden_block_count_z
      - .offset:         140
        .size:           2
        .value_kind:     hidden_group_size_x
      - .offset:         142
        .size:           2
        .value_kind:     hidden_group_size_y
      - .offset:         144
        .size:           2
        .value_kind:     hidden_group_size_z
      - .offset:         146
        .size:           2
        .value_kind:     hidden_remainder_x
      - .offset:         148
        .size:           2
        .value_kind:     hidden_remainder_y
      - .offset:         150
        .size:           2
        .value_kind:     hidden_remainder_z
      - .offset:         168
        .size:           8
        .value_kind:     hidden_global_offset_x
      - .offset:         176
        .size:           8
        .value_kind:     hidden_global_offset_y
      - .offset:         184
        .size:           8
        .value_kind:     hidden_global_offset_z
      - .offset:         192
        .size:           2
        .value_kind:     hidden_grid_dims
    .group_segment_fixed_size: 0
    .kernarg_segment_align: 8
    .kernarg_segment_size: 384
    .language:       OpenCL C
    .language_version:
      - 2
      - 0
    .max_flat_workgroup_size: 1024
    .name:           _ZN4vllm21deepseek_v4_fused_ops30fusedDeepseekV4FullCacheKernelIN3c104HalfELb0ELb0EEEvPT_PhllPKS4_S6_PKlSA_PKfSC_SC_fiiiill
    .private_segment_fixed_size: 0
    .sgpr_count:     27
    .sgpr_spill_count: 0
    .symbol:         _ZN4vllm21deepseek_v4_fused_ops30fusedDeepseekV4FullCacheKernelIN3c104HalfELb0ELb0EEEvPT_PhllPKS4_S6_PKlSA_PKfSC_SC_fiiiill.kd
    .uniform_work_group_size: 1
    .uses_dynamic_stack: false
    .vgpr_count:     54
    .vgpr_spill_count: 0
    .wavefront_size: 64
  - .agpr_count:     0
    .args:
      - .address_space:  global
        .offset:         0
        .size:           8
        .value_kind:     global_buffer
      - .actual_access:  read_only
        .address_space:  global
        .offset:         8
        .size:           8
        .value_kind:     global_buffer
      - .offset:         16
        .size:           8
        .value_kind:     by_value
      - .offset:         24
        .size:           8
        .value_kind:     by_value
      - .actual_access:  read_only
        .address_space:  global
        .offset:         32
        .size:           8
        .value_kind:     global_buffer
      - .actual_access:  write_only
        .address_space:  global
        .offset:         40
        .size:           8
        .value_kind:     global_buffer
      - .actual_access:  read_only
        .address_space:  global
        .offset:         48
        .size:           8
        .value_kind:     global_buffer
      - .actual_access:  read_only
        .address_space:  global
        .offset:         56
        .size:           8
        .value_kind:     global_buffer
      - .actual_access:  read_only
        .address_space:  global
        .offset:         64
        .size:           8
        .value_kind:     global_buffer
      - .actual_access:  read_only
        .address_space:  global
        .offset:         72
        .size:           8
        .value_kind:     global_buffer
      - .actual_access:  read_only
        .address_space:  global
        .offset:         80
        .size:           8
        .value_kind:     global_buffer
      - .offset:         88
        .size:           4
        .value_kind:     by_value
      - .offset:         92
        .size:           4
        .value_kind:     by_value
      - .offset:         96
        .size:           4
        .value_kind:     by_value
      - .offset:         100
        .size:           4
        .value_kind:     by_value
      - .offset:         104
        .size:           4
        .value_kind:     by_value
      - .offset:         112
        .size:           8
        .value_kind:     by_value
      - .offset:         120
        .size:           8
        .value_kind:     by_value
      - .offset:         128
        .size:           4
        .value_kind:     hidden_block_count_x
      - .offset:         132
        .size:           4
        .value_kind:     hidden_block_count_y
      - .offset:         136
        .size:           4
        .value_kind:     hidden_block_count_z
      - .offset:         140
        .size:           2
        .value_kind:     hidden_group_size_x
      - .offset:         142
        .size:           2
        .value_kind:     hidden_group_size_y
      - .offset:         144
        .size:           2
        .value_kind:     hidden_group_size_z
      - .offset:         146
        .size:           2
        .value_kind:     hidden_remainder_x
      - .offset:         148
        .size:           2
        .value_kind:     hidden_remainder_y
      - .offset:         150
        .size:           2
        .value_kind:     hidden_remainder_z
      - .offset:         168
        .size:           8
        .value_kind:     hidden_global_offset_x
      - .offset:         176
        .size:           8
        .value_kind:     hidden_global_offset_y
      - .offset:         184
        .size:           8
        .value_kind:     hidden_global_offset_z
      - .offset:         192
        .size:           2
        .value_kind:     hidden_grid_dims
    .group_segment_fixed_size: 0
    .kernarg_segment_align: 8
    .kernarg_segment_size: 384
    .language:       OpenCL C
    .language_version:
      - 2
      - 0
    .max_flat_workgroup_size: 1024
    .name:           _ZN4vllm21deepseek_v4_fused_ops30fusedDeepseekV4FullCacheKernelIN3c108BFloat16ELb0ELb0EEEvPT_PhllPKS4_S6_PKlSA_PKfSC_SC_fiiiill
    .private_segment_fixed_size: 0
    .sgpr_count:     30
    .sgpr_spill_count: 0
    .symbol:         _ZN4vllm21deepseek_v4_fused_ops30fusedDeepseekV4FullCacheKernelIN3c108BFloat16ELb0ELb0EEEvPT_PhllPKS4_S6_PKlSA_PKfSC_SC_fiiiill.kd
    .uniform_work_group_size: 1
    .uses_dynamic_stack: false
    .vgpr_count:     54
    .vgpr_spill_count: 0
    .wavefront_size: 64
  - .agpr_count:     0
    .args:
      - .actual_access:  read_only
        .address_space:  global
        .offset:         0
        .size:           8
        .value_kind:     global_buffer
      - .actual_access:  read_only
        .address_space:  global
        .offset:         8
        .size:           8
        .value_kind:     global_buffer
      - .offset:         16
        .size:           8
        .value_kind:     by_value
      - .offset:         24
        .size:           8
        .value_kind:     by_value
      - .actual_access:  read_only
        .address_space:  global
        .offset:         32
        .size:           8
        .value_kind:     global_buffer
      - .actual_access:  read_only
        .address_space:  global
        .offset:         40
        .size:           8
        .value_kind:     global_buffer
      - .actual_access:  read_only
        .address_space:  global
        .offset:         48
        .size:           8
        .value_kind:     global_buffer
      - .actual_access:  read_only
        .address_space:  global
        .offset:         56
        .size:           8
        .value_kind:     global_buffer
      - .actual_access:  read_only
        .address_space:  global
        .offset:         64
        .size:           8
        .value_kind:     global_buffer
      - .actual_access:  read_only
        .address_space:  global
        .offset:         72
        .size:           8
        .value_kind:     global_buffer
      - .actual_access:  read_only
        .address_space:  global
        .offset:         80
        .size:           8
        .value_kind:     global_buffer
      - .offset:         88
        .size:           4
        .value_kind:     by_value
      - .offset:         92
        .size:           4
        .value_kind:     by_value
      - .offset:         96
        .size:           4
        .value_kind:     by_value
      - .offset:         100
        .size:           4
        .value_kind:     by_value
      - .offset:         104
        .size:           4
        .value_kind:     by_value
      - .offset:         112
        .size:           8
        .value_kind:     by_value
      - .offset:         120
        .size:           8
        .value_kind:     by_value
      - .offset:         128
        .size:           4
        .value_kind:     hidden_block_count_x
      - .offset:         132
        .size:           4
        .value_kind:     hidden_block_count_y
      - .offset:         136
        .size:           4
        .value_kind:     hidden_block_count_z
      - .offset:         140
        .size:           2
        .value_kind:     hidden_group_size_x
      - .offset:         142
        .size:           2
        .value_kind:     hidden_group_size_y
      - .offset:         144
        .size:           2
        .value_kind:     hidden_group_size_z
      - .offset:         146
        .size:           2
        .value_kind:     hidden_remainder_x
      - .offset:         148
        .size:           2
        .value_kind:     hidden_remainder_y
      - .offset:         150
        .size:           2
        .value_kind:     hidden_remainder_z
      - .offset:         168
        .size:           8
        .value_kind:     hidden_global_offset_x
      - .offset:         176
        .size:           8
        .value_kind:     hidden_global_offset_y
      - .offset:         184
        .size:           8
        .value_kind:     hidden_global_offset_z
      - .offset:         192
        .size:           2
        .value_kind:     hidden_grid_dims
    .group_segment_fixed_size: 0
    .kernarg_segment_align: 8
    .kernarg_segment_size: 384
    .language:       OpenCL C
    .language_version:
      - 2
      - 0
    .max_flat_workgroup_size: 1024
    .name:           _ZN4vllm21deepseek_v4_fused_ops30fusedDeepseekV4FullCacheKernelIN3c104HalfELb1ELb1EEEvPT_PhllPKS4_S6_PKlSA_PKfSC_SC_fiiiill
    .private_segment_fixed_size: 0
    .sgpr_count:     16
    .sgpr_spill_count: 0
    .symbol:         _ZN4vllm21deepseek_v4_fused_ops30fusedDeepseekV4FullCacheKernelIN3c104HalfELb1ELb1EEEvPT_PhllPKS4_S6_PKlSA_PKfSC_SC_fiiiill.kd
    .uniform_work_group_size: 1
    .uses_dynamic_stack: false
    .vgpr_count:     6
    .vgpr_spill_count: 0
    .wavefront_size: 64
  - .agpr_count:     0
    .args:
      - .actual_access:  read_only
        .address_space:  global
        .offset:         0
        .size:           8
        .value_kind:     global_buffer
      - .actual_access:  read_only
        .address_space:  global
        .offset:         8
        .size:           8
        .value_kind:     global_buffer
      - .offset:         16
        .size:           8
        .value_kind:     by_value
      - .offset:         24
        .size:           8
        .value_kind:     by_value
      - .actual_access:  read_only
        .address_space:  global
        .offset:         32
        .size:           8
        .value_kind:     global_buffer
      - .actual_access:  read_only
        .address_space:  global
        .offset:         40
        .size:           8
        .value_kind:     global_buffer
      - .actual_access:  read_only
        .address_space:  global
        .offset:         48
        .size:           8
        .value_kind:     global_buffer
      - .actual_access:  read_only
        .address_space:  global
        .offset:         56
        .size:           8
        .value_kind:     global_buffer
      - .actual_access:  read_only
        .address_space:  global
        .offset:         64
        .size:           8
        .value_kind:     global_buffer
      - .actual_access:  read_only
        .address_space:  global
        .offset:         72
        .size:           8
        .value_kind:     global_buffer
      - .actual_access:  read_only
        .address_space:  global
        .offset:         80
        .size:           8
        .value_kind:     global_buffer
      - .offset:         88
        .size:           4
        .value_kind:     by_value
      - .offset:         92
        .size:           4
        .value_kind:     by_value
      - .offset:         96
        .size:           4
        .value_kind:     by_value
      - .offset:         100
        .size:           4
        .value_kind:     by_value
      - .offset:         104
        .size:           4
        .value_kind:     by_value
      - .offset:         112
        .size:           8
        .value_kind:     by_value
      - .offset:         120
        .size:           8
        .value_kind:     by_value
      - .offset:         128
        .size:           4
        .value_kind:     hidden_block_count_x
      - .offset:         132
        .size:           4
        .value_kind:     hidden_block_count_y
      - .offset:         136
        .size:           4
        .value_kind:     hidden_block_count_z
      - .offset:         140
        .size:           2
        .value_kind:     hidden_group_size_x
      - .offset:         142
        .size:           2
        .value_kind:     hidden_group_size_y
      - .offset:         144
        .size:           2
        .value_kind:     hidden_group_size_z
      - .offset:         146
        .size:           2
        .value_kind:     hidden_remainder_x
      - .offset:         148
        .size:           2
        .value_kind:     hidden_remainder_y
      - .offset:         150
        .size:           2
        .value_kind:     hidden_remainder_z
      - .offset:         168
        .size:           8
        .value_kind:     hidden_global_offset_x
      - .offset:         176
        .size:           8
        .value_kind:     hidden_global_offset_y
      - .offset:         184
        .size:           8
        .value_kind:     hidden_global_offset_z
      - .offset:         192
        .size:           2
        .value_kind:     hidden_grid_dims
    .group_segment_fixed_size: 0
    .kernarg_segment_align: 8
    .kernarg_segment_size: 384
    .language:       OpenCL C
    .language_version:
      - 2
      - 0
    .max_flat_workgroup_size: 1024
    .name:           _ZN4vllm21deepseek_v4_fused_ops30fusedDeepseekV4FullCacheKernelIN3c108BFloat16ELb1ELb1EEEvPT_PhllPKS4_S6_PKlSA_PKfSC_SC_fiiiill
    .private_segment_fixed_size: 0
    .sgpr_count:     16
    .sgpr_spill_count: 0
    .symbol:         _ZN4vllm21deepseek_v4_fused_ops30fusedDeepseekV4FullCacheKernelIN3c108BFloat16ELb1ELb1EEEvPT_PhllPKS4_S6_PKlSA_PKfSC_SC_fiiiill.kd
    .uniform_work_group_size: 1
    .uses_dynamic_stack: false
    .vgpr_count:     6
    .vgpr_spill_count: 0
    .wavefront_size: 64
amdhsa.target:   amdgcn-amd-amdhsa--gfx942
amdhsa.version:
  - 1
  - 2
...

	.end_amdgpu_metadata
